;; amdgpu-corpus repo=ROCm/rocFFT kind=compiled arch=gfx1201 opt=O3
	.text
	.amdgcn_target "amdgcn-amd-amdhsa--gfx1201"
	.amdhsa_code_object_version 6
	.protected	fft_rtc_fwd_len612_factors_17_3_6_2_wgs_51_tpt_51_halfLds_dp_op_CI_CI_unitstride_sbrr_C2R_dirReg ; -- Begin function fft_rtc_fwd_len612_factors_17_3_6_2_wgs_51_tpt_51_halfLds_dp_op_CI_CI_unitstride_sbrr_C2R_dirReg
	.globl	fft_rtc_fwd_len612_factors_17_3_6_2_wgs_51_tpt_51_halfLds_dp_op_CI_CI_unitstride_sbrr_C2R_dirReg
	.p2align	8
	.type	fft_rtc_fwd_len612_factors_17_3_6_2_wgs_51_tpt_51_halfLds_dp_op_CI_CI_unitstride_sbrr_C2R_dirReg,@function
fft_rtc_fwd_len612_factors_17_3_6_2_wgs_51_tpt_51_halfLds_dp_op_CI_CI_unitstride_sbrr_C2R_dirReg: ; @fft_rtc_fwd_len612_factors_17_3_6_2_wgs_51_tpt_51_halfLds_dp_op_CI_CI_unitstride_sbrr_C2R_dirReg
; %bb.0:
	s_clause 0x2
	s_load_b128 s[8:11], s[0:1], 0x0
	s_load_b128 s[4:7], s[0:1], 0x58
	;; [unrolled: 1-line block ×3, first 2 shown]
	v_mul_u32_u24_e32 v1, 0x506, v0
	v_mov_b32_e32 v3, 0
	s_delay_alu instid0(VALU_DEP_2) | instskip(NEXT) | instid1(VALU_DEP_1)
	v_lshrrev_b32_e32 v1, 16, v1
	v_add_nc_u32_e32 v5, ttmp9, v1
	v_mov_b32_e32 v1, 0
	v_mov_b32_e32 v2, 0
	;; [unrolled: 1-line block ×3, first 2 shown]
	s_wait_kmcnt 0x0
	v_cmp_lt_u64_e64 s2, s[10:11], 2
	s_delay_alu instid0(VALU_DEP_1)
	s_and_b32 vcc_lo, exec_lo, s2
	s_cbranch_vccnz .LBB0_8
; %bb.1:
	s_load_b64 s[2:3], s[0:1], 0x10
	v_mov_b32_e32 v1, 0
	v_mov_b32_e32 v2, 0
	s_add_nc_u64 s[16:17], s[14:15], 8
	s_add_nc_u64 s[18:19], s[12:13], 8
	s_mov_b64 s[20:21], 1
	s_delay_alu instid0(VALU_DEP_1)
	v_dual_mov_b32 v69, v2 :: v_dual_mov_b32 v68, v1
	s_wait_kmcnt 0x0
	s_add_nc_u64 s[22:23], s[2:3], 8
	s_mov_b32 s3, 0
.LBB0_2:                                ; =>This Inner Loop Header: Depth=1
	s_load_b64 s[24:25], s[22:23], 0x0
                                        ; implicit-def: $vgpr72_vgpr73
	s_mov_b32 s2, exec_lo
	s_wait_kmcnt 0x0
	v_or_b32_e32 v4, s25, v6
	s_delay_alu instid0(VALU_DEP_1)
	v_cmpx_ne_u64_e32 0, v[3:4]
	s_wait_alu 0xfffe
	s_xor_b32 s26, exec_lo, s2
	s_cbranch_execz .LBB0_4
; %bb.3:                                ;   in Loop: Header=BB0_2 Depth=1
	s_cvt_f32_u32 s2, s24
	s_cvt_f32_u32 s27, s25
	s_sub_nc_u64 s[30:31], 0, s[24:25]
	s_wait_alu 0xfffe
	s_delay_alu instid0(SALU_CYCLE_1) | instskip(SKIP_1) | instid1(SALU_CYCLE_2)
	s_fmamk_f32 s2, s27, 0x4f800000, s2
	s_wait_alu 0xfffe
	v_s_rcp_f32 s2, s2
	s_delay_alu instid0(TRANS32_DEP_1) | instskip(SKIP_1) | instid1(SALU_CYCLE_2)
	s_mul_f32 s2, s2, 0x5f7ffffc
	s_wait_alu 0xfffe
	s_mul_f32 s27, s2, 0x2f800000
	s_wait_alu 0xfffe
	s_delay_alu instid0(SALU_CYCLE_2) | instskip(SKIP_1) | instid1(SALU_CYCLE_2)
	s_trunc_f32 s27, s27
	s_wait_alu 0xfffe
	s_fmamk_f32 s2, s27, 0xcf800000, s2
	s_cvt_u32_f32 s29, s27
	s_wait_alu 0xfffe
	s_delay_alu instid0(SALU_CYCLE_1) | instskip(SKIP_1) | instid1(SALU_CYCLE_2)
	s_cvt_u32_f32 s28, s2
	s_wait_alu 0xfffe
	s_mul_u64 s[34:35], s[30:31], s[28:29]
	s_wait_alu 0xfffe
	s_mul_hi_u32 s37, s28, s35
	s_mul_i32 s36, s28, s35
	s_mul_hi_u32 s2, s28, s34
	s_mul_i32 s33, s29, s34
	s_wait_alu 0xfffe
	s_add_nc_u64 s[36:37], s[2:3], s[36:37]
	s_mul_hi_u32 s27, s29, s34
	s_mul_hi_u32 s38, s29, s35
	s_add_co_u32 s2, s36, s33
	s_wait_alu 0xfffe
	s_add_co_ci_u32 s2, s37, s27
	s_mul_i32 s34, s29, s35
	s_add_co_ci_u32 s35, s38, 0
	s_wait_alu 0xfffe
	s_add_nc_u64 s[34:35], s[2:3], s[34:35]
	s_wait_alu 0xfffe
	v_add_co_u32 v4, s2, s28, s34
	s_delay_alu instid0(VALU_DEP_1) | instskip(SKIP_1) | instid1(VALU_DEP_1)
	s_cmp_lg_u32 s2, 0
	s_add_co_ci_u32 s29, s29, s35
	v_readfirstlane_b32 s28, v4
	s_wait_alu 0xfffe
	s_delay_alu instid0(VALU_DEP_1)
	s_mul_u64 s[30:31], s[30:31], s[28:29]
	s_wait_alu 0xfffe
	s_mul_hi_u32 s35, s28, s31
	s_mul_i32 s34, s28, s31
	s_mul_hi_u32 s2, s28, s30
	s_mul_i32 s33, s29, s30
	s_wait_alu 0xfffe
	s_add_nc_u64 s[34:35], s[2:3], s[34:35]
	s_mul_hi_u32 s27, s29, s30
	s_mul_hi_u32 s28, s29, s31
	s_wait_alu 0xfffe
	s_add_co_u32 s2, s34, s33
	s_add_co_ci_u32 s2, s35, s27
	s_mul_i32 s30, s29, s31
	s_add_co_ci_u32 s31, s28, 0
	s_wait_alu 0xfffe
	s_add_nc_u64 s[30:31], s[2:3], s[30:31]
	s_wait_alu 0xfffe
	v_add_co_u32 v4, s2, v4, s30
	s_delay_alu instid0(VALU_DEP_1) | instskip(SKIP_1) | instid1(VALU_DEP_1)
	s_cmp_lg_u32 s2, 0
	s_add_co_ci_u32 s2, s29, s31
	v_mul_hi_u32 v13, v5, v4
	s_wait_alu 0xfffe
	v_mad_co_u64_u32 v[7:8], null, v5, s2, 0
	v_mad_co_u64_u32 v[9:10], null, v6, v4, 0
	;; [unrolled: 1-line block ×3, first 2 shown]
	s_delay_alu instid0(VALU_DEP_3) | instskip(SKIP_1) | instid1(VALU_DEP_4)
	v_add_co_u32 v4, vcc_lo, v13, v7
	s_wait_alu 0xfffd
	v_add_co_ci_u32_e32 v7, vcc_lo, 0, v8, vcc_lo
	s_delay_alu instid0(VALU_DEP_2) | instskip(SKIP_1) | instid1(VALU_DEP_2)
	v_add_co_u32 v4, vcc_lo, v4, v9
	s_wait_alu 0xfffd
	v_add_co_ci_u32_e32 v4, vcc_lo, v7, v10, vcc_lo
	s_wait_alu 0xfffd
	v_add_co_ci_u32_e32 v7, vcc_lo, 0, v12, vcc_lo
	s_delay_alu instid0(VALU_DEP_2) | instskip(SKIP_1) | instid1(VALU_DEP_2)
	v_add_co_u32 v4, vcc_lo, v4, v11
	s_wait_alu 0xfffd
	v_add_co_ci_u32_e32 v9, vcc_lo, 0, v7, vcc_lo
	s_delay_alu instid0(VALU_DEP_2) | instskip(SKIP_1) | instid1(VALU_DEP_3)
	v_mul_lo_u32 v10, s25, v4
	v_mad_co_u64_u32 v[7:8], null, s24, v4, 0
	v_mul_lo_u32 v11, s24, v9
	s_delay_alu instid0(VALU_DEP_2) | instskip(NEXT) | instid1(VALU_DEP_2)
	v_sub_co_u32 v7, vcc_lo, v5, v7
	v_add3_u32 v8, v8, v11, v10
	s_delay_alu instid0(VALU_DEP_1) | instskip(SKIP_1) | instid1(VALU_DEP_1)
	v_sub_nc_u32_e32 v10, v6, v8
	s_wait_alu 0xfffd
	v_subrev_co_ci_u32_e64 v10, s2, s25, v10, vcc_lo
	v_add_co_u32 v11, s2, v4, 2
	s_wait_alu 0xf1ff
	v_add_co_ci_u32_e64 v12, s2, 0, v9, s2
	v_sub_co_u32 v13, s2, v7, s24
	v_sub_co_ci_u32_e32 v8, vcc_lo, v6, v8, vcc_lo
	s_wait_alu 0xf1ff
	v_subrev_co_ci_u32_e64 v10, s2, 0, v10, s2
	s_delay_alu instid0(VALU_DEP_3) | instskip(NEXT) | instid1(VALU_DEP_3)
	v_cmp_le_u32_e32 vcc_lo, s24, v13
	v_cmp_eq_u32_e64 s2, s25, v8
	s_wait_alu 0xfffd
	v_cndmask_b32_e64 v13, 0, -1, vcc_lo
	v_cmp_le_u32_e32 vcc_lo, s25, v10
	s_wait_alu 0xfffd
	v_cndmask_b32_e64 v14, 0, -1, vcc_lo
	v_cmp_le_u32_e32 vcc_lo, s24, v7
	;; [unrolled: 3-line block ×3, first 2 shown]
	s_wait_alu 0xfffd
	v_cndmask_b32_e64 v15, 0, -1, vcc_lo
	v_cmp_eq_u32_e32 vcc_lo, s25, v10
	s_wait_alu 0xf1ff
	s_delay_alu instid0(VALU_DEP_2)
	v_cndmask_b32_e64 v7, v15, v7, s2
	s_wait_alu 0xfffd
	v_cndmask_b32_e32 v10, v14, v13, vcc_lo
	v_add_co_u32 v13, vcc_lo, v4, 1
	s_wait_alu 0xfffd
	v_add_co_ci_u32_e32 v14, vcc_lo, 0, v9, vcc_lo
	s_delay_alu instid0(VALU_DEP_3) | instskip(SKIP_1) | instid1(VALU_DEP_2)
	v_cmp_ne_u32_e32 vcc_lo, 0, v10
	s_wait_alu 0xfffd
	v_cndmask_b32_e32 v8, v14, v12, vcc_lo
	v_cndmask_b32_e32 v10, v13, v11, vcc_lo
	v_cmp_ne_u32_e32 vcc_lo, 0, v7
	s_wait_alu 0xfffd
	s_delay_alu instid0(VALU_DEP_2)
	v_dual_cndmask_b32 v73, v9, v8 :: v_dual_cndmask_b32 v72, v4, v10
.LBB0_4:                                ;   in Loop: Header=BB0_2 Depth=1
	s_wait_alu 0xfffe
	s_and_not1_saveexec_b32 s2, s26
	s_cbranch_execz .LBB0_6
; %bb.5:                                ;   in Loop: Header=BB0_2 Depth=1
	v_cvt_f32_u32_e32 v4, s24
	s_sub_co_i32 s26, 0, s24
	v_mov_b32_e32 v73, v3
	s_delay_alu instid0(VALU_DEP_2) | instskip(NEXT) | instid1(TRANS32_DEP_1)
	v_rcp_iflag_f32_e32 v4, v4
	v_mul_f32_e32 v4, 0x4f7ffffe, v4
	s_delay_alu instid0(VALU_DEP_1) | instskip(SKIP_1) | instid1(VALU_DEP_1)
	v_cvt_u32_f32_e32 v4, v4
	s_wait_alu 0xfffe
	v_mul_lo_u32 v7, s26, v4
	s_delay_alu instid0(VALU_DEP_1) | instskip(NEXT) | instid1(VALU_DEP_1)
	v_mul_hi_u32 v7, v4, v7
	v_add_nc_u32_e32 v4, v4, v7
	s_delay_alu instid0(VALU_DEP_1) | instskip(NEXT) | instid1(VALU_DEP_1)
	v_mul_hi_u32 v4, v5, v4
	v_mul_lo_u32 v7, v4, s24
	v_add_nc_u32_e32 v8, 1, v4
	s_delay_alu instid0(VALU_DEP_2) | instskip(NEXT) | instid1(VALU_DEP_1)
	v_sub_nc_u32_e32 v7, v5, v7
	v_subrev_nc_u32_e32 v9, s24, v7
	v_cmp_le_u32_e32 vcc_lo, s24, v7
	s_wait_alu 0xfffd
	s_delay_alu instid0(VALU_DEP_2) | instskip(NEXT) | instid1(VALU_DEP_1)
	v_dual_cndmask_b32 v7, v7, v9 :: v_dual_cndmask_b32 v4, v4, v8
	v_cmp_le_u32_e32 vcc_lo, s24, v7
	s_delay_alu instid0(VALU_DEP_2) | instskip(SKIP_1) | instid1(VALU_DEP_1)
	v_add_nc_u32_e32 v8, 1, v4
	s_wait_alu 0xfffd
	v_cndmask_b32_e32 v72, v4, v8, vcc_lo
.LBB0_6:                                ;   in Loop: Header=BB0_2 Depth=1
	s_wait_alu 0xfffe
	s_or_b32 exec_lo, exec_lo, s2
	v_mul_lo_u32 v4, v73, s24
	s_delay_alu instid0(VALU_DEP_2)
	v_mul_lo_u32 v9, v72, s25
	s_load_b64 s[26:27], s[18:19], 0x0
	v_mad_co_u64_u32 v[7:8], null, v72, s24, 0
	s_load_b64 s[24:25], s[16:17], 0x0
	s_add_nc_u64 s[20:21], s[20:21], 1
	s_add_nc_u64 s[16:17], s[16:17], 8
	s_wait_alu 0xfffe
	v_cmp_ge_u64_e64 s2, s[20:21], s[10:11]
	s_add_nc_u64 s[18:19], s[18:19], 8
	s_add_nc_u64 s[22:23], s[22:23], 8
	v_add3_u32 v4, v8, v9, v4
	v_sub_co_u32 v5, vcc_lo, v5, v7
	s_wait_alu 0xfffd
	s_delay_alu instid0(VALU_DEP_2) | instskip(SKIP_2) | instid1(VALU_DEP_1)
	v_sub_co_ci_u32_e32 v4, vcc_lo, v6, v4, vcc_lo
	s_and_b32 vcc_lo, exec_lo, s2
	s_wait_kmcnt 0x0
	v_mul_lo_u32 v6, s26, v4
	v_mul_lo_u32 v7, s27, v5
	v_mad_co_u64_u32 v[1:2], null, s26, v5, v[1:2]
	v_mul_lo_u32 v4, s24, v4
	v_mul_lo_u32 v8, s25, v5
	v_mad_co_u64_u32 v[68:69], null, s24, v5, v[68:69]
	s_delay_alu instid0(VALU_DEP_4) | instskip(NEXT) | instid1(VALU_DEP_2)
	v_add3_u32 v2, v7, v2, v6
	v_add3_u32 v69, v8, v69, v4
	s_wait_alu 0xfffe
	s_cbranch_vccnz .LBB0_9
; %bb.7:                                ;   in Loop: Header=BB0_2 Depth=1
	v_dual_mov_b32 v5, v72 :: v_dual_mov_b32 v6, v73
	s_branch .LBB0_2
.LBB0_8:
	v_dual_mov_b32 v69, v2 :: v_dual_mov_b32 v68, v1
	v_dual_mov_b32 v73, v6 :: v_dual_mov_b32 v72, v5
.LBB0_9:
	s_load_b64 s[0:1], s[0:1], 0x28
	v_mul_hi_u32 v3, 0x5050506, v0
	s_lshl_b64 s[10:11], s[10:11], 3
                                        ; implicit-def: $vgpr70
                                        ; implicit-def: $vgpr4_vgpr5
	s_wait_alu 0xfffe
	s_add_nc_u64 s[2:3], s[14:15], s[10:11]
	s_wait_kmcnt 0x0
	v_cmp_gt_u64_e32 vcc_lo, s[0:1], v[72:73]
	v_cmp_le_u64_e64 s0, s[0:1], v[72:73]
	s_delay_alu instid0(VALU_DEP_1)
	s_and_saveexec_b32 s1, s0
	s_wait_alu 0xfffe
	s_xor_b32 s0, exec_lo, s1
; %bb.10:
	v_mul_u32_u24_e32 v1, 51, v3
	v_mov_b32_e32 v71, 0
                                        ; implicit-def: $vgpr3
	s_delay_alu instid0(VALU_DEP_2) | instskip(NEXT) | instid1(VALU_DEP_1)
	v_sub_nc_u32_e32 v70, v0, v1
                                        ; implicit-def: $vgpr0
                                        ; implicit-def: $vgpr1_vgpr2
	v_dual_mov_b32 v4, v70 :: v_dual_mov_b32 v5, v71
; %bb.11:
	s_wait_alu 0xfffe
	s_or_saveexec_b32 s1, s0
	s_load_b64 s[2:3], s[2:3], 0x0
	s_xor_b32 exec_lo, exec_lo, s1
	s_cbranch_execz .LBB0_15
; %bb.12:
	s_add_nc_u64 s[10:11], s[12:13], s[10:11]
	v_lshlrev_b64_e32 v[1:2], 4, v[1:2]
	s_load_b64 s[10:11], s[10:11], 0x0
	v_mov_b32_e32 v71, 0
	s_wait_kmcnt 0x0
	v_mul_lo_u32 v6, s11, v72
	v_mul_lo_u32 v7, s10, v73
	v_mad_co_u64_u32 v[4:5], null, s10, v72, 0
	s_delay_alu instid0(VALU_DEP_1) | instskip(SKIP_1) | instid1(VALU_DEP_2)
	v_add3_u32 v5, v5, v7, v6
	v_mul_u32_u24_e32 v6, 51, v3
	v_lshlrev_b64_e32 v[3:4], 4, v[4:5]
	s_delay_alu instid0(VALU_DEP_2) | instskip(NEXT) | instid1(VALU_DEP_2)
	v_sub_nc_u32_e32 v70, v0, v6
	v_add_co_u32 v0, s0, s4, v3
	s_wait_alu 0xf1ff
	s_delay_alu instid0(VALU_DEP_3) | instskip(NEXT) | instid1(VALU_DEP_3)
	v_add_co_ci_u32_e64 v3, s0, s5, v4, s0
	v_lshlrev_b32_e32 v4, 4, v70
	s_delay_alu instid0(VALU_DEP_3) | instskip(SKIP_1) | instid1(VALU_DEP_3)
	v_add_co_u32 v0, s0, v0, v1
	s_wait_alu 0xf1ff
	v_add_co_ci_u32_e64 v1, s0, v3, v2, s0
	s_mov_b32 s4, exec_lo
	s_delay_alu instid0(VALU_DEP_2) | instskip(SKIP_1) | instid1(VALU_DEP_2)
	v_add_co_u32 v2, s0, v0, v4
	s_wait_alu 0xf1ff
	v_add_co_ci_u32_e64 v3, s0, 0, v1, s0
	s_clause 0xb
	global_load_b128 v[6:9], v[2:3], off
	global_load_b128 v[10:13], v[2:3], off offset:816
	global_load_b128 v[14:17], v[2:3], off offset:1632
	;; [unrolled: 1-line block ×11, first 2 shown]
	v_add_nc_u32_e32 v2, 0, v4
	v_dual_mov_b32 v4, v70 :: v_dual_mov_b32 v5, v71
	s_wait_loadcnt 0xb
	ds_store_b128 v2, v[6:9]
	s_wait_loadcnt 0xa
	ds_store_b128 v2, v[10:13] offset:816
	s_wait_loadcnt 0x9
	ds_store_b128 v2, v[14:17] offset:1632
	;; [unrolled: 2-line block ×11, first 2 shown]
	v_cmpx_eq_u32_e32 50, v70
	s_cbranch_execz .LBB0_14
; %bb.13:
	global_load_b128 v[0:3], v[0:1], off offset:9792
	v_mov_b32_e32 v4, 50
	v_dual_mov_b32 v5, 0 :: v_dual_mov_b32 v70, 50
	s_wait_loadcnt 0x0
	ds_store_b128 v71, v[0:3] offset:9792
.LBB0_14:
	s_wait_alu 0xfffe
	s_or_b32 exec_lo, exec_lo, s4
.LBB0_15:
	s_delay_alu instid0(SALU_CYCLE_1)
	s_or_b32 exec_lo, exec_lo, s1
	v_lshlrev_b32_e32 v0, 4, v70
	global_wb scope:SCOPE_SE
	s_wait_dscnt 0x0
	s_wait_kmcnt 0x0
	s_barrier_signal -1
	s_barrier_wait -1
	global_inv scope:SCOPE_SE
	v_add_nc_u32_e32 v90, 0, v0
	v_sub_nc_u32_e32 v10, 0, v0
	v_lshlrev_b64_e32 v[100:101], 4, v[4:5]
	s_mov_b32 s1, exec_lo
	ds_load_b64 v[6:7], v90
	ds_load_b64 v[8:9], v10 offset:9792
	s_wait_dscnt 0x0
	v_add_f64_e32 v[0:1], v[6:7], v[8:9]
	v_add_f64_e64 v[2:3], v[6:7], -v[8:9]
	v_cmpx_ne_u32_e32 0, v70
	s_wait_alu 0xfffe
	s_xor_b32 s1, exec_lo, s1
	s_cbranch_execz .LBB0_17
; %bb.16:
	v_add_co_u32 v0, s0, s8, v100
	s_wait_alu 0xf1ff
	v_add_co_ci_u32_e64 v1, s0, s9, v101, s0
	v_add_f64_e32 v[13:14], v[6:7], v[8:9]
	v_add_f64_e64 v[8:9], v[6:7], -v[8:9]
	global_load_b128 v[2:5], v[0:1], off offset:9520
	ds_load_b64 v[0:1], v10 offset:9800
	ds_load_b64 v[11:12], v90 offset:8
	s_wait_dscnt 0x0
	v_add_f64_e32 v[6:7], v[0:1], v[11:12]
	v_add_f64_e64 v[0:1], v[11:12], -v[0:1]
	s_wait_loadcnt 0x0
	v_fma_f64 v[11:12], v[8:9], v[4:5], v[13:14]
	v_fma_f64 v[13:14], -v[8:9], v[4:5], v[13:14]
	s_delay_alu instid0(VALU_DEP_3) | instskip(SKIP_1) | instid1(VALU_DEP_4)
	v_fma_f64 v[15:16], v[6:7], v[4:5], -v[0:1]
	v_fma_f64 v[17:18], v[6:7], v[4:5], v[0:1]
	v_fma_f64 v[0:1], -v[6:7], v[2:3], v[11:12]
	s_delay_alu instid0(VALU_DEP_4) | instskip(NEXT) | instid1(VALU_DEP_4)
	v_fma_f64 v[4:5], v[6:7], v[2:3], v[13:14]
	v_fma_f64 v[6:7], v[8:9], v[2:3], v[15:16]
	s_delay_alu instid0(VALU_DEP_4)
	v_fma_f64 v[2:3], v[8:9], v[2:3], v[17:18]
	ds_store_b128 v10, v[4:7] offset:9792
.LBB0_17:
	s_wait_alu 0xfffe
	s_and_not1_saveexec_b32 s0, s1
	s_cbranch_execz .LBB0_19
; %bb.18:
	v_mov_b32_e32 v8, 0
	ds_load_b128 v[4:7], v8 offset:4896
	s_wait_dscnt 0x0
	v_add_f64_e32 v[4:5], v[4:5], v[4:5]
	v_mul_f64_e32 v[6:7], -2.0, v[6:7]
	ds_store_b128 v8, v[4:7] offset:4896
.LBB0_19:
	s_wait_alu 0xfffe
	s_or_b32 exec_lo, exec_lo, s0
	v_mov_b32_e32 v71, 0
	s_add_nc_u64 s[0:1], s[8:9], 0x2530
	s_mov_b32 s33, exec_lo
	s_delay_alu instid0(VALU_DEP_1) | instskip(SKIP_1) | instid1(VALU_DEP_1)
	v_lshlrev_b64_e32 v[102:103], 4, v[70:71]
	s_wait_alu 0xfffe
	v_add_co_u32 v23, s0, s0, v102
	s_wait_alu 0xf1ff
	s_delay_alu instid0(VALU_DEP_2)
	v_add_co_ci_u32_e64 v24, s0, s1, v103, s0
	s_clause 0x1
	global_load_b128 v[4:7], v[23:24], off offset:816
	global_load_b128 v[11:14], v[23:24], off offset:1632
	ds_store_b128 v90, v[0:3]
	ds_load_b128 v[0:3], v90 offset:816
	ds_load_b128 v[15:18], v10 offset:8976
	global_load_b128 v[19:22], v[23:24], off offset:2448
	s_wait_dscnt 0x0
	v_add_f64_e32 v[8:9], v[0:1], v[15:16]
	v_add_f64_e32 v[25:26], v[17:18], v[2:3]
	v_add_f64_e64 v[15:16], v[0:1], -v[15:16]
	v_add_f64_e64 v[0:1], v[2:3], -v[17:18]
	s_wait_loadcnt 0x2
	s_delay_alu instid0(VALU_DEP_2) | instskip(NEXT) | instid1(VALU_DEP_2)
	v_fma_f64 v[2:3], v[15:16], v[6:7], v[8:9]
	v_fma_f64 v[17:18], v[25:26], v[6:7], v[0:1]
	v_fma_f64 v[8:9], -v[15:16], v[6:7], v[8:9]
	v_fma_f64 v[27:28], v[25:26], v[6:7], -v[0:1]
	s_delay_alu instid0(VALU_DEP_4) | instskip(NEXT) | instid1(VALU_DEP_4)
	v_fma_f64 v[0:1], -v[25:26], v[4:5], v[2:3]
	v_fma_f64 v[2:3], v[15:16], v[4:5], v[17:18]
	s_delay_alu instid0(VALU_DEP_4) | instskip(NEXT) | instid1(VALU_DEP_4)
	v_fma_f64 v[6:7], v[25:26], v[4:5], v[8:9]
	v_fma_f64 v[8:9], v[15:16], v[4:5], v[27:28]
	ds_store_b128 v90, v[0:3] offset:816
	ds_store_b128 v10, v[6:9] offset:8976
	ds_load_b128 v[0:3], v90 offset:1632
	ds_load_b128 v[4:7], v10 offset:8160
	global_load_b128 v[15:18], v[23:24], off offset:3264
	s_wait_dscnt 0x0
	v_add_f64_e32 v[8:9], v[0:1], v[4:5]
	v_add_f64_e32 v[25:26], v[6:7], v[2:3]
	v_add_f64_e64 v[27:28], v[0:1], -v[4:5]
	v_add_f64_e64 v[0:1], v[2:3], -v[6:7]
	s_wait_loadcnt 0x2
	s_delay_alu instid0(VALU_DEP_2) | instskip(NEXT) | instid1(VALU_DEP_2)
	v_fma_f64 v[2:3], v[27:28], v[13:14], v[8:9]
	v_fma_f64 v[4:5], v[25:26], v[13:14], v[0:1]
	v_fma_f64 v[6:7], -v[27:28], v[13:14], v[8:9]
	v_fma_f64 v[8:9], v[25:26], v[13:14], -v[0:1]
	s_delay_alu instid0(VALU_DEP_4) | instskip(NEXT) | instid1(VALU_DEP_4)
	v_fma_f64 v[0:1], -v[25:26], v[11:12], v[2:3]
	v_fma_f64 v[2:3], v[27:28], v[11:12], v[4:5]
	s_delay_alu instid0(VALU_DEP_4) | instskip(NEXT) | instid1(VALU_DEP_4)
	v_fma_f64 v[4:5], v[25:26], v[11:12], v[6:7]
	v_fma_f64 v[6:7], v[27:28], v[11:12], v[8:9]
	ds_store_b128 v90, v[0:3] offset:1632
	ds_store_b128 v10, v[4:7] offset:8160
	;; [unrolled: 22-line block ×3, first 2 shown]
	ds_load_b128 v[0:3], v90 offset:3264
	ds_load_b128 v[4:7], v10 offset:6528
	s_wait_dscnt 0x0
	v_add_f64_e32 v[8:9], v[0:1], v[4:5]
	v_add_f64_e32 v[19:20], v[6:7], v[2:3]
	v_add_f64_e64 v[21:22], v[0:1], -v[4:5]
	v_add_f64_e64 v[0:1], v[2:3], -v[6:7]
	s_wait_loadcnt 0x1
	s_delay_alu instid0(VALU_DEP_2) | instskip(NEXT) | instid1(VALU_DEP_2)
	v_fma_f64 v[2:3], v[21:22], v[17:18], v[8:9]
	v_fma_f64 v[4:5], v[19:20], v[17:18], v[0:1]
	v_fma_f64 v[6:7], -v[21:22], v[17:18], v[8:9]
	v_fma_f64 v[8:9], v[19:20], v[17:18], -v[0:1]
	s_delay_alu instid0(VALU_DEP_4) | instskip(NEXT) | instid1(VALU_DEP_4)
	v_fma_f64 v[0:1], -v[19:20], v[15:16], v[2:3]
	v_fma_f64 v[2:3], v[21:22], v[15:16], v[4:5]
	s_delay_alu instid0(VALU_DEP_4) | instskip(NEXT) | instid1(VALU_DEP_4)
	v_fma_f64 v[4:5], v[19:20], v[15:16], v[6:7]
	v_fma_f64 v[6:7], v[21:22], v[15:16], v[8:9]
	ds_store_b128 v90, v[0:3] offset:3264
	ds_store_b128 v10, v[4:7] offset:6528
	ds_load_b128 v[0:3], v90 offset:4080
	ds_load_b128 v[4:7], v10 offset:5712
	s_wait_dscnt 0x0
	v_add_f64_e32 v[8:9], v[0:1], v[4:5]
	v_add_f64_e32 v[15:16], v[6:7], v[2:3]
	v_add_f64_e64 v[17:18], v[0:1], -v[4:5]
	v_add_f64_e64 v[0:1], v[2:3], -v[6:7]
	s_wait_loadcnt 0x0
	s_delay_alu instid0(VALU_DEP_2) | instskip(NEXT) | instid1(VALU_DEP_2)
	v_fma_f64 v[2:3], v[17:18], v[13:14], v[8:9]
	v_fma_f64 v[4:5], v[15:16], v[13:14], v[0:1]
	v_fma_f64 v[6:7], -v[17:18], v[13:14], v[8:9]
	v_fma_f64 v[8:9], v[15:16], v[13:14], -v[0:1]
	s_delay_alu instid0(VALU_DEP_4) | instskip(NEXT) | instid1(VALU_DEP_4)
	v_fma_f64 v[0:1], -v[15:16], v[11:12], v[2:3]
	v_fma_f64 v[2:3], v[17:18], v[11:12], v[4:5]
	s_delay_alu instid0(VALU_DEP_4) | instskip(NEXT) | instid1(VALU_DEP_4)
	v_fma_f64 v[4:5], v[15:16], v[11:12], v[6:7]
	v_fma_f64 v[6:7], v[17:18], v[11:12], v[8:9]
	ds_store_b128 v90, v[0:3] offset:4080
	ds_store_b128 v10, v[4:7] offset:5712
	global_wb scope:SCOPE_SE
	s_wait_dscnt 0x0
	s_barrier_signal -1
	s_barrier_wait -1
	global_inv scope:SCOPE_SE
	global_wb scope:SCOPE_SE
	s_barrier_signal -1
	s_barrier_wait -1
	global_inv scope:SCOPE_SE
	ds_load_b128 v[0:3], v90
	ds_load_b128 v[8:11], v90 offset:576
	ds_load_b128 v[74:77], v90 offset:1152
	ds_load_b128 v[16:19], v90 offset:1728
	ds_load_b128 v[32:35], v90 offset:2304
	ds_load_b128 v[40:43], v90 offset:2880
	ds_load_b128 v[48:51], v90 offset:3456
	ds_load_b128 v[56:59], v90 offset:4032
	ds_load_b128 v[64:67], v90 offset:4608
	ds_load_b128 v[60:63], v90 offset:5184
	ds_load_b128 v[52:55], v90 offset:5760
	ds_load_b128 v[44:47], v90 offset:6336
	ds_load_b128 v[36:39], v90 offset:6912
	ds_load_b128 v[28:31], v90 offset:7488
	ds_load_b128 v[20:23], v90 offset:8064
	ds_load_b128 v[12:15], v90 offset:8640
	ds_load_b128 v[4:7], v90 offset:9216
	global_wb scope:SCOPE_SE
	s_wait_dscnt 0x0
	s_barrier_signal -1
	s_barrier_wait -1
	global_inv scope:SCOPE_SE
	v_cmpx_gt_u32_e32 36, v70
	s_cbranch_execz .LBB0_21
; %bb.20:
	v_add_f64_e32 v[78:79], v[2:3], v[10:11]
	v_add_f64_e32 v[80:81], v[0:1], v[8:9]
	;; [unrolled: 1-line block ×3, first 2 shown]
	v_add_f64_e64 v[195:196], v[66:67], -v[62:63]
	s_mov_b32 s18, 0x6c9a05f6
	s_mov_b32 s26, 0x75d4884
	;; [unrolled: 1-line block ×6, first 2 shown]
	v_add_f64_e64 v[145:146], v[64:65], -v[60:61]
	v_add_f64_e32 v[26:27], v[74:75], v[12:13]
	s_mov_b32 s14, 0x3259b75e
	s_mov_b32 s10, 0xc61f0d01
	;; [unrolled: 1-line block ×26, first 2 shown]
	v_add_f64_e32 v[78:79], v[78:79], v[76:77]
	v_add_f64_e32 v[80:81], v[80:81], v[74:75]
	s_mov_b32 s29, 0xbfeca52d
	s_mov_b32 s25, 0x3fe0d888
	s_mov_b32 s39, 0xbfd71e95
	s_mov_b32 s23, 0x3fc7851a
	s_mov_b32 s35, 0x3fefdd0d
	s_mov_b32 s43, 0xbfeec746
	s_mov_b32 s37, 0x3feca52d
	s_mov_b32 s45, 0xbfe0d888
	s_mov_b32 s49, 0x3fd71e95
	s_mov_b32 s51, 0xbfc7851a
	s_mov_b32 s34, s54
	s_mov_b32 s42, s16
	s_wait_alu 0xfffe
	s_mov_b32 s36, s28
	s_mov_b32 s44, s24
	;; [unrolled: 1-line block ×4, first 2 shown]
	s_clause 0x1
	scratch_store_b64 off, v[100:101], off
	scratch_store_b64 off, v[102:103], off offset:8
	v_add_f64_e32 v[155:156], v[58:59], v[54:55]
	v_add_f64_e64 v[151:152], v[58:59], -v[54:55]
	v_mul_f64_e32 v[163:164], s[34:35], v[195:196]
	v_mul_f64_e32 v[161:162], s[14:15], v[165:166]
	;; [unrolled: 1-line block ×3, first 2 shown]
	v_add_f64_e32 v[78:79], v[78:79], v[18:19]
	v_add_f64_e32 v[80:81], v[80:81], v[16:17]
	v_mul_f64_e32 v[189:190], s[4:5], v[155:156]
	v_mul_f64_e32 v[191:192], s[44:45], v[151:152]
	;; [unrolled: 1-line block ×6, first 2 shown]
	v_add_f64_e32 v[78:79], v[78:79], v[34:35]
	v_add_f64_e32 v[80:81], v[80:81], v[32:33]
	s_delay_alu instid0(VALU_DEP_2) | instskip(NEXT) | instid1(VALU_DEP_2)
	v_add_f64_e32 v[78:79], v[78:79], v[42:43]
	v_add_f64_e32 v[80:81], v[80:81], v[40:41]
	s_delay_alu instid0(VALU_DEP_2) | instskip(NEXT) | instid1(VALU_DEP_2)
	;; [unrolled: 3-line block ×3, first 2 shown]
	v_add_f64_e32 v[78:79], v[78:79], v[58:59]
	v_add_f64_e32 v[80:81], v[80:81], v[56:57]
	v_add_f64_e64 v[58:59], v[42:43], -v[38:39]
	s_delay_alu instid0(VALU_DEP_3) | instskip(NEXT) | instid1(VALU_DEP_3)
	v_add_f64_e32 v[82:83], v[78:79], v[66:67]
	v_add_f64_e32 v[84:85], v[80:81], v[64:65]
	v_add_f64_e64 v[66:67], v[50:51], -v[46:47]
	v_add_f64_e32 v[80:81], v[64:65], v[60:61]
	v_add_f64_e64 v[64:65], v[56:57], -v[52:53]
	;; [unrolled: 2-line block ×3, first 2 shown]
	v_mul_f64_e32 v[183:184], s[42:43], v[58:59]
	v_mul_f64_e32 v[211:212], s[24:25], v[58:59]
	;; [unrolled: 1-line block ×3, first 2 shown]
	v_add_f64_e32 v[82:83], v[82:83], v[62:63]
	v_add_f64_e32 v[84:85], v[84:85], v[60:61]
	;; [unrolled: 1-line block ×3, first 2 shown]
	v_add_f64_e64 v[50:51], v[34:35], -v[30:31]
	v_add_f64_e32 v[60:61], v[48:49], v[44:45]
	v_add_f64_e64 v[48:49], v[40:41], -v[36:37]
	v_mul_f64_e32 v[187:188], s[52:53], v[66:67]
	v_mul_f64_e32 v[215:216], s[16:17], v[66:67]
	;; [unrolled: 1-line block ×3, first 2 shown]
	v_add_f64_e32 v[82:83], v[82:83], v[54:55]
	v_add_f64_e32 v[84:85], v[84:85], v[52:53]
	;; [unrolled: 1-line block ×3, first 2 shown]
	v_add_f64_e64 v[40:41], v[32:33], -v[28:29]
	v_add_f64_e32 v[54:55], v[42:43], v[38:39]
	v_add_f64_e64 v[42:43], v[18:19], -v[22:23]
	v_mul_f64_e32 v[179:180], s[54:55], v[50:51]
	v_mul_f64_e32 v[185:186], s[12:13], v[62:63]
	;; [unrolled: 1-line block ×6, first 2 shown]
	v_add_f64_e32 v[82:83], v[82:83], v[46:47]
	v_add_f64_e32 v[84:85], v[84:85], v[44:45]
	v_add_f64_e32 v[46:47], v[34:35], v[30:31]
	v_add_f64_e64 v[34:35], v[76:77], -v[14:15]
	v_add_f64_e32 v[44:45], v[32:33], v[28:29]
	v_add_f64_e64 v[32:33], v[16:17], -v[20:21]
	v_mul_f64_e32 v[175:176], s[28:29], v[42:43]
	v_mul_f64_e32 v[181:182], s[10:11], v[54:55]
	;; [unrolled: 1-line block ×6, first 2 shown]
	v_add_f64_e32 v[82:83], v[82:83], v[38:39]
	v_add_f64_e32 v[84:85], v[84:85], v[36:37]
	v_add_f64_e32 v[38:39], v[18:19], v[22:23]
	v_add_f64_e32 v[36:37], v[16:17], v[20:21]
	v_mul_f64_e32 v[171:172], s[46:47], v[34:35]
	v_mul_f64_e32 v[177:178], s[14:15], v[46:47]
	;; [unrolled: 1-line block ×8, first 2 shown]
	v_add_f64_e32 v[82:83], v[82:83], v[30:31]
	v_add_f64_e32 v[84:85], v[84:85], v[28:29]
	;; [unrolled: 1-line block ×3, first 2 shown]
	v_add_f64_e64 v[28:29], v[74:75], -v[12:13]
	v_mul_f64_e32 v[173:174], s[20:21], v[38:39]
	v_mul_f64_e32 v[201:202], s[12:13], v[38:39]
	;; [unrolled: 1-line block ×5, first 2 shown]
	v_add_f64_e32 v[82:83], v[82:83], v[22:23]
	v_add_f64_e32 v[84:85], v[84:85], v[20:21]
	v_mul_f64_e32 v[169:170], s[26:27], v[30:31]
	v_mul_f64_e32 v[197:198], s[14:15], v[30:31]
	;; [unrolled: 1-line block ×6, first 2 shown]
	v_add_f64_e32 v[14:15], v[82:83], v[14:15]
	v_add_f64_e32 v[82:83], v[10:11], v[6:7]
	v_add_f64_e64 v[10:11], v[10:11], -v[6:7]
	v_add_f64_e32 v[12:13], v[84:85], v[12:13]
	v_add_f64_e64 v[84:85], v[8:9], -v[4:5]
	v_add_f64_e32 v[8:9], v[8:9], v[4:5]
	v_add_f64_e32 v[6:7], v[14:15], v[6:7]
	v_mul_f64_e32 v[95:96], s[26:27], v[82:83]
	v_mul_f64_e32 v[115:116], s[52:53], v[10:11]
	v_add_f64_e32 v[4:5], v[12:13], v[4:5]
	v_mul_f64_e32 v[12:13], s[0:1], v[82:83]
	v_mul_f64_e32 v[14:15], s[4:5], v[82:83]
	;; [unrolled: 1-line block ×11, first 2 shown]
	v_fma_f64 v[109:110], v[84:85], s[40:41], v[95:96]
	v_fma_f64 v[129:130], v[8:9], s[12:13], v[115:116]
	v_fma_f64 v[115:116], v[8:9], s[12:13], -v[115:116]
	scratch_store_b128 off, v[4:7], off offset:16 ; 16-byte Folded Spill
	v_fma_f64 v[97:98], v[84:85], s[22:23], v[12:13]
	v_fma_f64 v[12:13], v[84:85], s[50:51], v[12:13]
	;; [unrolled: 1-line block ×15, first 2 shown]
	v_mul_f64_e32 v[82:83], s[50:51], v[10:11]
	v_mul_f64_e32 v[84:85], s[44:45], v[10:11]
	v_mul_f64_e32 v[10:11], s[38:39], v[10:11]
	v_fma_f64 v[137:138], v[8:9], s[26:27], v[123:124]
	v_fma_f64 v[131:132], v[8:9], s[10:11], v[117:118]
	v_fma_f64 v[117:118], v[8:9], s[10:11], -v[117:118]
	v_fma_f64 v[133:134], v[8:9], s[14:15], v[119:120]
	v_fma_f64 v[119:120], v[8:9], s[14:15], -v[119:120]
	;; [unrolled: 2-line block ×3, first 2 shown]
	v_fma_f64 v[123:124], v[8:9], s[26:27], -v[123:124]
	v_add_f64_e32 v[6:7], v[2:3], v[109:110]
	v_add_f64_e32 v[129:130], v[0:1], v[129:130]
	;; [unrolled: 1-line block ×6, first 2 shown]
	v_mul_f64_e32 v[14:15], s[4:5], v[38:39]
	v_add_f64_e32 v[101:102], v[2:3], v[101:102]
	v_add_f64_e32 v[86:87], v[2:3], v[86:87]
	;; [unrolled: 1-line block ×6, first 2 shown]
	v_fma_f64 v[125:126], v[8:9], s[0:1], v[82:83]
	v_fma_f64 v[82:83], v[8:9], s[0:1], -v[82:83]
	v_fma_f64 v[127:128], v[8:9], s[4:5], v[84:85]
	v_fma_f64 v[84:85], v[8:9], s[4:5], -v[84:85]
	;; [unrolled: 2-line block ×3, first 2 shown]
	v_add_f64_e32 v[10:11], v[2:3], v[97:98]
	v_add_f64_e32 v[131:132], v[0:1], v[131:132]
	;; [unrolled: 1-line block ×7, first 2 shown]
	scratch_store_b64 off, v[6:7], off offset:72 ; 8-byte Folded Spill
	v_add_f64_e32 v[6:7], v[0:1], v[137:138]
	scratch_store_b64 off, v[4:5], off offset:96 ; 8-byte Folded Spill
	v_add_f64_e32 v[4:5], v[2:3], v[103:104]
	v_add_f64_e32 v[103:104], v[2:3], v[95:96]
	v_fma_f64 v[91:92], v[32:33], s[24:25], v[14:15]
	v_add_f64_e32 v[97:98], v[0:1], v[125:126]
	v_add_f64_e32 v[125:126], v[0:1], v[82:83]
	;; [unrolled: 1-line block ×4, first 2 shown]
	scratch_store_b64 off, v[6:7], off offset:64 ; 8-byte Folded Spill
	v_add_f64_e32 v[6:7], v[2:3], v[111:112]
	scratch_store_b64 off, v[4:5], off offset:88 ; 8-byte Folded Spill
	v_add_f64_e32 v[4:5], v[2:3], v[107:108]
	v_add_f64_e32 v[111:112], v[0:1], v[8:9]
	v_mul_f64_e32 v[8:9], s[30:31], v[30:31]
	v_add_f64_e32 v[107:108], v[2:3], v[93:94]
	scratch_store_b64 off, v[6:7], off offset:56 ; 8-byte Folded Spill
	v_add_f64_e32 v[6:7], v[0:1], v[139:140]
	scratch_store_b64 off, v[4:5], off offset:80 ; 8-byte Folded Spill
	v_add_f64_e32 v[4:5], v[0:1], v[121:122]
	v_fma_f64 v[0:1], v[28:29], s[38:39], v[8:9]
	v_fma_f64 v[8:9], v[28:29], s[48:49], v[8:9]
	v_dual_mov_b32 v121, v165 :: v_dual_mov_b32 v122, v166
	s_delay_alu instid0(VALU_DEP_1)
	v_mul_f64_e32 v[193:194], s[0:1], v[121:122]
	v_mul_f64_e32 v[221:222], s[30:31], v[121:122]
	;; [unrolled: 1-line block ×4, first 2 shown]
	v_add_f64_e32 v[0:1], v[0:1], v[10:11]
	v_mul_f64_e32 v[10:11], s[48:49], v[34:35]
	v_add_f64_e32 v[8:9], v[8:9], v[12:13]
	v_fma_f64 v[12:13], v[32:33], s[44:45], v[14:15]
	v_fma_f64 v[14:15], v[80:81], s[14:15], -v[163:164]
	v_add_f64_e32 v[0:1], v[91:92], v[0:1]
	v_fma_f64 v[2:3], v[26:27], s[30:31], v[10:11]
	v_mul_f64_e32 v[91:92], s[44:45], v[42:43]
	v_fma_f64 v[10:11], v[26:27], s[30:31], -v[10:11]
	v_add_f64_e32 v[8:9], v[12:13], v[8:9]
	s_delay_alu instid0(VALU_DEP_4) | instskip(NEXT) | instid1(VALU_DEP_4)
	v_add_f64_e32 v[2:3], v[2:3], v[97:98]
	v_fma_f64 v[93:94], v[36:37], s[4:5], v[91:92]
	s_delay_alu instid0(VALU_DEP_4) | instskip(SKIP_2) | instid1(VALU_DEP_4)
	v_add_f64_e32 v[10:11], v[10:11], v[125:126]
	v_fma_f64 v[12:13], v[36:37], s[4:5], -v[91:92]
	v_mul_f64_e32 v[91:92], s[20:21], v[30:31]
	v_add_f64_e32 v[2:3], v[93:94], v[2:3]
	v_mul_f64_e32 v[93:94], s[26:27], v[46:47]
	s_delay_alu instid0(VALU_DEP_4) | instskip(NEXT) | instid1(VALU_DEP_2)
	v_add_f64_e32 v[10:11], v[12:13], v[10:11]
	v_fma_f64 v[95:96], v[40:41], s[46:47], v[93:94]
	v_fma_f64 v[12:13], v[40:41], s[40:41], v[93:94]
	v_mul_f64_e32 v[93:94], s[36:37], v[34:35]
	s_delay_alu instid0(VALU_DEP_3) | instskip(SKIP_1) | instid1(VALU_DEP_4)
	v_add_f64_e32 v[0:1], v[95:96], v[0:1]
	v_mul_f64_e32 v[95:96], s[40:41], v[50:51]
	v_add_f64_e32 v[8:9], v[12:13], v[8:9]
	s_delay_alu instid0(VALU_DEP_2) | instskip(SKIP_2) | instid1(VALU_DEP_3)
	v_fma_f64 v[97:98], v[44:45], s[26:27], v[95:96]
	v_fma_f64 v[12:13], v[44:45], s[26:27], -v[95:96]
	v_mul_f64_e32 v[95:96], s[14:15], v[38:39]
	v_add_f64_e32 v[2:3], v[97:98], v[2:3]
	v_mul_f64_e32 v[97:98], s[12:13], v[54:55]
	s_delay_alu instid0(VALU_DEP_4) | instskip(NEXT) | instid1(VALU_DEP_2)
	v_add_f64_e32 v[10:11], v[12:13], v[10:11]
	v_fma_f64 v[113:114], v[48:49], s[18:19], v[97:98]
	v_fma_f64 v[12:13], v[48:49], s[52:53], v[97:98]
	;; [unrolled: 1-line block ×4, first 2 shown]
	s_delay_alu instid0(VALU_DEP_4) | instskip(SKIP_2) | instid1(VALU_DEP_2)
	v_add_f64_e32 v[0:1], v[113:114], v[0:1]
	v_mul_f64_e32 v[113:114], s[52:53], v[58:59]
	v_add_f64_e32 v[8:9], v[12:13], v[8:9]
	v_fma_f64 v[123:124], v[52:53], s[12:13], v[113:114]
	v_fma_f64 v[12:13], v[52:53], s[12:13], -v[113:114]
	s_delay_alu instid0(VALU_DEP_2) | instskip(SKIP_1) | instid1(VALU_DEP_3)
	v_add_f64_e32 v[2:3], v[123:124], v[2:3]
	v_mul_f64_e32 v[123:124], s[20:21], v[62:63]
	v_add_f64_e32 v[10:11], v[12:13], v[10:11]
	s_delay_alu instid0(VALU_DEP_2) | instskip(SKIP_1) | instid1(VALU_DEP_2)
	v_fma_f64 v[137:138], v[56:57], s[28:29], v[123:124]
	v_fma_f64 v[12:13], v[56:57], s[36:37], v[123:124]
	v_add_f64_e32 v[0:1], v[137:138], v[0:1]
	v_mul_f64_e32 v[137:138], s[36:37], v[66:67]
	s_delay_alu instid0(VALU_DEP_3) | instskip(NEXT) | instid1(VALU_DEP_2)
	v_add_f64_e32 v[8:9], v[12:13], v[8:9]
	v_fma_f64 v[139:140], v[60:61], s[20:21], v[137:138]
	v_fma_f64 v[12:13], v[60:61], s[20:21], -v[137:138]
	s_delay_alu instid0(VALU_DEP_2) | instskip(SKIP_1) | instid1(VALU_DEP_3)
	v_add_f64_e32 v[2:3], v[139:140], v[2:3]
	v_mul_f64_e32 v[139:140], s[10:11], v[155:156]
	v_add_f64_e32 v[10:11], v[12:13], v[10:11]
	s_delay_alu instid0(VALU_DEP_2) | instskip(SKIP_1) | instid1(VALU_DEP_2)
	v_fma_f64 v[157:158], v[64:65], s[16:17], v[139:140]
	v_fma_f64 v[12:13], v[64:65], s[42:43], v[139:140]
	v_add_f64_e32 v[0:1], v[157:158], v[0:1]
	v_mul_f64_e32 v[157:158], s[42:43], v[151:152]
	s_delay_alu instid0(VALU_DEP_3) | instskip(NEXT) | instid1(VALU_DEP_2)
	v_add_f64_e32 v[8:9], v[12:13], v[8:9]
	v_fma_f64 v[12:13], v[78:79], s[10:11], -v[157:158]
	v_fma_f64 v[159:160], v[78:79], s[10:11], v[157:158]
	s_delay_alu instid0(VALU_DEP_2) | instskip(NEXT) | instid1(VALU_DEP_2)
	v_add_f64_e32 v[12:13], v[12:13], v[10:11]
	v_add_f64_e32 v[159:160], v[159:160], v[2:3]
	v_fma_f64 v[2:3], v[145:146], s[54:55], v[161:162]
	v_fma_f64 v[10:11], v[145:146], s[34:35], v[161:162]
	v_mul_f64_e32 v[161:162], s[10:11], v[165:166]
	v_mul_f64_e32 v[165:166], s[20:21], v[121:122]
	v_add_f64_e32 v[147:148], v[14:15], v[12:13]
	v_fma_f64 v[12:13], v[28:29], s[28:29], v[91:92]
	v_fma_f64 v[14:15], v[26:27], s[20:21], v[93:94]
	;; [unrolled: 1-line block ×3, first 2 shown]
	v_fma_f64 v[93:94], v[26:27], s[20:21], -v[93:94]
	v_add_f64_e32 v[2:3], v[2:3], v[0:1]
	v_fma_f64 v[0:1], v[80:81], s[14:15], v[163:164]
	v_mul_f64_e32 v[163:164], s[42:43], v[195:196]
	v_add_f64_e32 v[149:150], v[10:11], v[8:9]
	v_mul_f64_e32 v[8:9], s[44:45], v[66:67]
	v_add_f64_e32 v[12:13], v[12:13], v[99:100]
	v_add_f64_e32 v[14:15], v[14:15], v[127:128]
	;; [unrolled: 1-line block ×4, first 2 shown]
	v_mul_f64_e32 v[141:142], s[14:15], v[54:55]
	v_add_f64_e32 v[0:1], v[0:1], v[159:160]
	v_mul_f64_e32 v[143:144], s[34:35], v[58:59]
	scratch_store_b64 off, v[6:7], off offset:48 ; 8-byte Folded Spill
	v_mul_f64_e32 v[6:7], s[12:13], v[155:156]
	v_add_f64_e32 v[12:13], v[97:98], v[12:13]
	v_mul_f64_e32 v[97:98], s[54:55], v[42:43]
	v_add_f64_e32 v[91:92], v[95:96], v[91:92]
	scratch_store_b128 off, v[0:3], off offset:32 ; 16-byte Folded Spill
	v_dual_mov_b32 v2, v195 :: v_dual_mov_b32 v3, v196
	v_mul_f64_e32 v[0:1], s[38:39], v[151:152]
	s_delay_alu instid0(VALU_DEP_2)
	v_mul_f64_e32 v[195:196], s[50:51], v[2:3]
	v_mul_f64_e32 v[223:224], s[48:49], v[2:3]
	;; [unrolled: 1-line block ×3, first 2 shown]
	v_fma_f64 v[99:100], v[36:37], s[14:15], v[97:98]
	v_fma_f64 v[95:96], v[36:37], s[14:15], -v[97:98]
	v_fma_f64 v[97:98], v[80:81], s[10:11], -v[163:164]
	s_delay_alu instid0(VALU_DEP_3) | instskip(SKIP_1) | instid1(VALU_DEP_4)
	v_add_f64_e32 v[14:15], v[99:100], v[14:15]
	v_mul_f64_e32 v[99:100], s[12:13], v[46:47]
	v_add_f64_e32 v[93:94], v[95:96], v[93:94]
	s_delay_alu instid0(VALU_DEP_2) | instskip(SKIP_1) | instid1(VALU_DEP_2)
	v_fma_f64 v[113:114], v[40:41], s[52:53], v[99:100]
	v_fma_f64 v[95:96], v[40:41], s[18:19], v[99:100]
	v_add_f64_e32 v[12:13], v[113:114], v[12:13]
	v_mul_f64_e32 v[113:114], s[18:19], v[50:51]
	s_delay_alu instid0(VALU_DEP_3) | instskip(NEXT) | instid1(VALU_DEP_2)
	v_add_f64_e32 v[91:92], v[95:96], v[91:92]
	v_fma_f64 v[123:124], v[44:45], s[12:13], v[113:114]
	v_fma_f64 v[95:96], v[44:45], s[12:13], -v[113:114]
	s_delay_alu instid0(VALU_DEP_2) | instskip(SKIP_1) | instid1(VALU_DEP_3)
	v_add_f64_e32 v[14:15], v[123:124], v[14:15]
	v_mul_f64_e32 v[123:124], s[30:31], v[54:55]
	v_add_f64_e32 v[93:94], v[95:96], v[93:94]
	v_mul_f64_e32 v[54:55], s[0:1], v[54:55]
	s_delay_alu instid0(VALU_DEP_3) | instskip(SKIP_2) | instid1(VALU_DEP_3)
	v_fma_f64 v[125:126], v[48:49], s[48:49], v[123:124]
	v_fma_f64 v[95:96], v[48:49], s[38:39], v[123:124]
	v_mul_f64_e32 v[123:124], s[10:11], v[30:31]
	v_add_f64_e32 v[12:13], v[125:126], v[12:13]
	v_mul_f64_e32 v[125:126], s[38:39], v[58:59]
	s_delay_alu instid0(VALU_DEP_4) | instskip(SKIP_1) | instid1(VALU_DEP_3)
	v_add_f64_e32 v[91:92], v[95:96], v[91:92]
	v_mul_f64_e32 v[58:59], s[50:51], v[58:59]
	v_fma_f64 v[127:128], v[52:53], s[30:31], v[125:126]
	v_fma_f64 v[95:96], v[52:53], s[30:31], -v[125:126]
	v_mul_f64_e32 v[125:126], s[16:17], v[34:35]
	s_delay_alu instid0(VALU_DEP_3) | instskip(SKIP_1) | instid1(VALU_DEP_4)
	v_add_f64_e32 v[14:15], v[127:128], v[14:15]
	v_mul_f64_e32 v[127:128], s[0:1], v[62:63]
	v_add_f64_e32 v[93:94], v[95:96], v[93:94]
	s_delay_alu instid0(VALU_DEP_2) | instskip(SKIP_3) | instid1(VALU_DEP_4)
	v_fma_f64 v[137:138], v[56:57], s[22:23], v[127:128]
	v_fma_f64 v[95:96], v[56:57], s[50:51], v[127:128]
	v_mul_f64_e32 v[127:128], s[30:31], v[38:39]
	v_mul_f64_e32 v[38:39], s[26:27], v[38:39]
	v_add_f64_e32 v[12:13], v[137:138], v[12:13]
	v_mul_f64_e32 v[137:138], s[50:51], v[66:67]
	v_add_f64_e32 v[91:92], v[95:96], v[91:92]
	v_fma_f64 v[99:100], v[32:33], s[48:49], v[127:128]
	s_delay_alu instid0(VALU_DEP_3) | instskip(SKIP_3) | instid1(VALU_DEP_4)
	v_fma_f64 v[139:140], v[60:61], s[0:1], v[137:138]
	v_fma_f64 v[95:96], v[60:61], s[0:1], -v[137:138]
	v_mul_f64_e32 v[137:138], s[4:5], v[46:47]
	v_mul_f64_e32 v[46:47], s[20:21], v[46:47]
	v_add_f64_e32 v[14:15], v[139:140], v[14:15]
	v_mul_f64_e32 v[139:140], s[26:27], v[155:156]
	v_add_f64_e32 v[93:94], v[95:96], v[93:94]
	s_delay_alu instid0(VALU_DEP_2) | instskip(SKIP_3) | instid1(VALU_DEP_4)
	v_fma_f64 v[157:158], v[64:65], s[46:47], v[139:140]
	v_fma_f64 v[95:96], v[64:65], s[40:41], v[139:140]
	v_mul_f64_e32 v[139:140], s[44:45], v[50:51]
	v_mul_f64_e32 v[50:51], s[28:29], v[50:51]
	v_add_f64_e32 v[12:13], v[157:158], v[12:13]
	v_mul_f64_e32 v[157:158], s[40:41], v[151:152]
	v_add_f64_e32 v[91:92], v[95:96], v[91:92]
	s_delay_alu instid0(VALU_DEP_2) | instskip(SKIP_2) | instid1(VALU_DEP_3)
	v_fma_f64 v[95:96], v[78:79], s[26:27], -v[157:158]
	v_fma_f64 v[159:160], v[78:79], s[26:27], v[157:158]
	v_mul_f64_e32 v[157:158], s[26:27], v[62:63]
	v_add_f64_e32 v[95:96], v[95:96], v[93:94]
	v_fma_f64 v[93:94], v[145:146], s[42:43], v[161:162]
	s_delay_alu instid0(VALU_DEP_4)
	v_add_f64_e32 v[159:160], v[159:160], v[14:15]
	v_fma_f64 v[14:15], v[145:146], s[16:17], v[161:162]
	v_mul_f64_e32 v[161:162], s[0:1], v[155:156]
	v_mul_f64_e32 v[155:156], s[30:31], v[155:156]
	v_add_f64_e32 v[93:94], v[93:94], v[91:92]
	v_add_f64_e32 v[91:92], v[97:98], v[95:96]
	v_fma_f64 v[95:96], v[28:29], s[42:43], v[123:124]
	v_fma_f64 v[97:98], v[26:27], s[10:11], v[125:126]
	v_add_f64_e32 v[84:85], v[14:15], v[12:13]
	v_fma_f64 v[12:13], v[80:81], s[10:11], v[163:164]
	v_mul_f64_e32 v[163:164], s[50:51], v[151:152]
	v_fma_f64 v[14:15], v[60:61], s[4:5], -v[8:9]
	v_fma_f64 v[8:9], v[60:61], s[4:5], v[8:9]
	v_add_f64_e32 v[95:96], v[95:96], v[101:102]
	v_add_f64_e32 v[97:98], v[97:98], v[129:130]
	v_mul_f64_e32 v[129:130], s[38:39], v[42:43]
	v_add_f64_e32 v[82:83], v[12:13], v[159:160]
	v_mul_f64_e32 v[159:160], s[46:47], v[66:67]
	v_fma_f64 v[101:102], v[26:27], s[26:27], -v[171:172]
	v_mul_f64_e32 v[12:13], s[4:5], v[62:63]
	v_mul_f64_e32 v[42:43], s[40:41], v[42:43]
	;; [unrolled: 1-line block ×4, first 2 shown]
	v_add_f64_e32 v[95:96], v[99:100], v[95:96]
	v_fma_f64 v[99:100], v[36:37], s[30:31], v[129:130]
	v_add_f64_e32 v[101:102], v[101:102], v[111:112]
	v_fma_f64 v[111:112], v[32:33], s[22:23], v[229:230]
	v_fma_f64 v[10:11], v[56:57], s[44:45], v[12:13]
	;; [unrolled: 1-line block ×3, first 2 shown]
	v_add_f64_e32 v[97:98], v[99:100], v[97:98]
	v_fma_f64 v[99:100], v[40:41], s[24:25], v[137:138]
	s_delay_alu instid0(VALU_DEP_1) | instskip(SKIP_1) | instid1(VALU_DEP_1)
	v_add_f64_e32 v[95:96], v[99:100], v[95:96]
	v_fma_f64 v[99:100], v[44:45], s[4:5], v[139:140]
	v_add_f64_e32 v[97:98], v[99:100], v[97:98]
	v_fma_f64 v[99:100], v[48:49], s[54:55], v[141:142]
	s_delay_alu instid0(VALU_DEP_1) | instskip(SKIP_1) | instid1(VALU_DEP_1)
	v_add_f64_e32 v[95:96], v[99:100], v[95:96]
	v_fma_f64 v[99:100], v[52:53], s[14:15], v[143:144]
	;; [unrolled: 5-line block ×6, first 2 shown]
	v_add_f64_e32 v[99:100], v[109:110], v[99:100]
	v_fma_f64 v[109:110], v[36:37], s[20:21], -v[175:176]
	s_delay_alu instid0(VALU_DEP_1) | instskip(SKIP_1) | instid1(VALU_DEP_1)
	v_add_f64_e32 v[101:102], v[109:110], v[101:102]
	v_fma_f64 v[109:110], v[40:41], s[54:55], v[177:178]
	v_add_f64_e32 v[99:100], v[109:110], v[99:100]
	v_fma_f64 v[109:110], v[44:45], s[14:15], -v[179:180]
	s_delay_alu instid0(VALU_DEP_1) | instskip(SKIP_1) | instid1(VALU_DEP_1)
	v_add_f64_e32 v[101:102], v[109:110], v[101:102]
	v_fma_f64 v[109:110], v[48:49], s[42:43], v[181:182]
	v_add_f64_e32 v[99:100], v[109:110], v[99:100]
	v_fma_f64 v[109:110], v[52:53], s[10:11], -v[183:184]
	s_delay_alu instid0(VALU_DEP_1) | instskip(SKIP_1) | instid1(VALU_DEP_1)
	v_add_f64_e32 v[101:102], v[109:110], v[101:102]
	v_fma_f64 v[109:110], v[56:57], s[52:53], v[185:186]
	v_add_f64_e32 v[99:100], v[109:110], v[99:100]
	v_fma_f64 v[109:110], v[60:61], s[12:13], -v[187:188]
	s_delay_alu instid0(VALU_DEP_1) | instskip(SKIP_1) | instid1(VALU_DEP_1)
	v_add_f64_e32 v[101:102], v[109:110], v[101:102]
	v_fma_f64 v[109:110], v[64:65], s[44:45], v[189:190]
	v_add_f64_e32 v[99:100], v[109:110], v[99:100]
	v_fma_f64 v[109:110], v[78:79], s[4:5], -v[191:192]
	s_delay_alu instid0(VALU_DEP_1) | instskip(SKIP_1) | instid1(VALU_DEP_1)
	v_add_f64_e32 v[109:110], v[109:110], v[101:102]
	v_fma_f64 v[101:102], v[145:146], s[50:51], v[193:194]
	v_add_f64_e32 v[101:102], v[101:102], v[99:100]
	v_fma_f64 v[99:100], v[80:81], s[0:1], -v[195:196]
	s_delay_alu instid0(VALU_DEP_1) | instskip(SKIP_1) | instid1(VALU_DEP_1)
	v_add_f64_e32 v[99:100], v[99:100], v[109:110]
	v_fma_f64 v[109:110], v[28:29], s[54:55], v[197:198]
	v_add_f64_e32 v[103:104], v[109:110], v[103:104]
	v_fma_f64 v[109:110], v[26:27], s[14:15], -v[199:200]
	s_delay_alu instid0(VALU_DEP_1) | instskip(SKIP_1) | instid1(VALU_DEP_1)
	v_add_f64_e32 v[105:106], v[109:110], v[105:106]
	v_fma_f64 v[109:110], v[32:33], s[52:53], v[201:202]
	v_add_f64_e32 v[103:104], v[109:110], v[103:104]
	v_fma_f64 v[109:110], v[36:37], s[12:13], -v[203:204]
	s_delay_alu instid0(VALU_DEP_1) | instskip(SKIP_1) | instid1(VALU_DEP_1)
	v_add_f64_e32 v[105:106], v[109:110], v[105:106]
	v_fma_f64 v[109:110], v[40:41], s[50:51], v[205:206]
	v_add_f64_e32 v[103:104], v[109:110], v[103:104]
	v_fma_f64 v[109:110], v[44:45], s[0:1], -v[207:208]
	s_delay_alu instid0(VALU_DEP_1) | instskip(SKIP_1) | instid1(VALU_DEP_1)
	v_add_f64_e32 v[105:106], v[109:110], v[105:106]
	v_fma_f64 v[109:110], v[48:49], s[24:25], v[209:210]
	v_add_f64_e32 v[103:104], v[109:110], v[103:104]
	v_fma_f64 v[109:110], v[52:53], s[4:5], -v[211:212]
	s_delay_alu instid0(VALU_DEP_1) | instskip(SKIP_1) | instid1(VALU_DEP_1)
	v_add_f64_e32 v[105:106], v[109:110], v[105:106]
	v_fma_f64 v[109:110], v[56:57], s[16:17], v[213:214]
	v_add_f64_e32 v[103:104], v[109:110], v[103:104]
	v_fma_f64 v[109:110], v[60:61], s[10:11], -v[215:216]
	s_delay_alu instid0(VALU_DEP_1) | instskip(SKIP_1) | instid1(VALU_DEP_1)
	v_add_f64_e32 v[105:106], v[109:110], v[105:106]
	v_fma_f64 v[109:110], v[64:65], s[36:37], v[217:218]
	v_add_f64_e32 v[103:104], v[109:110], v[103:104]
	v_fma_f64 v[109:110], v[78:79], s[20:21], -v[219:220]
	s_delay_alu instid0(VALU_DEP_1) | instskip(SKIP_1) | instid1(VALU_DEP_1)
	v_add_f64_e32 v[109:110], v[109:110], v[105:106]
	v_fma_f64 v[105:106], v[145:146], s[48:49], v[221:222]
	v_add_f64_e32 v[105:106], v[105:106], v[103:104]
	v_fma_f64 v[103:104], v[80:81], s[30:31], -v[223:224]
	s_delay_alu instid0(VALU_DEP_1) | instskip(SKIP_1) | instid1(VALU_DEP_1)
	v_add_f64_e32 v[103:104], v[103:104], v[109:110]
	v_fma_f64 v[109:110], v[28:29], s[52:53], v[225:226]
	v_add_f64_e32 v[107:108], v[109:110], v[107:108]
	v_fma_f64 v[109:110], v[26:27], s[12:13], -v[227:228]
	s_delay_alu instid0(VALU_DEP_2) | instskip(NEXT) | instid1(VALU_DEP_2)
	v_add_f64_e32 v[107:108], v[111:112], v[107:108]
	v_add_f64_e32 v[109:110], v[109:110], v[4:5]
	v_fma_f64 v[111:112], v[36:37], s[0:1], -v[231:232]
	v_mul_f64_e32 v[4:5], s[18:19], v[151:152]
	s_delay_alu instid0(VALU_DEP_2) | instskip(SKIP_1) | instid1(VALU_DEP_1)
	v_add_f64_e32 v[109:110], v[111:112], v[109:110]
	v_fma_f64 v[111:112], v[40:41], s[16:17], v[233:234]
	v_add_f64_e32 v[107:108], v[111:112], v[107:108]
	v_fma_f64 v[111:112], v[44:45], s[10:11], -v[235:236]
	s_delay_alu instid0(VALU_DEP_1) | instskip(SKIP_1) | instid1(VALU_DEP_1)
	v_add_f64_e32 v[109:110], v[111:112], v[109:110]
	v_fma_f64 v[111:112], v[48:49], s[40:41], v[237:238]
	v_add_f64_e32 v[107:108], v[111:112], v[107:108]
	v_fma_f64 v[111:112], v[52:53], s[26:27], -v[239:240]
	s_delay_alu instid0(VALU_DEP_1) | instskip(SKIP_1) | instid1(VALU_DEP_1)
	v_add_f64_e32 v[109:110], v[111:112], v[109:110]
	v_fma_f64 v[111:112], v[56:57], s[38:39], v[241:242]
	v_add_f64_e32 v[107:108], v[111:112], v[107:108]
	v_fma_f64 v[111:112], v[60:61], s[30:31], -v[243:244]
	s_delay_alu instid0(VALU_DEP_1) | instskip(SKIP_1) | instid1(VALU_DEP_1)
	v_add_f64_e32 v[109:110], v[111:112], v[109:110]
	v_fma_f64 v[111:112], v[64:65], s[54:55], v[245:246]
	v_add_f64_e32 v[107:108], v[111:112], v[107:108]
	v_fma_f64 v[111:112], v[78:79], s[14:15], -v[247:248]
	s_delay_alu instid0(VALU_DEP_1) | instskip(SKIP_1) | instid1(VALU_DEP_1)
	v_add_f64_e32 v[111:112], v[111:112], v[109:110]
	v_fma_f64 v[109:110], v[145:146], s[44:45], v[249:250]
	v_add_f64_e32 v[109:110], v[109:110], v[107:108]
	v_fma_f64 v[107:108], v[80:81], s[4:5], -v[251:252]
	s_delay_alu instid0(VALU_DEP_1) | instskip(SKIP_1) | instid1(VALU_DEP_1)
	v_add_f64_e32 v[107:108], v[107:108], v[111:112]
	v_fma_f64 v[111:112], v[28:29], s[50:51], v[253:254]
	v_add_f64_e32 v[111:112], v[111:112], v[153:154]
	v_mul_f64_e32 v[153:154], s[50:51], v[34:35]
	v_mul_f64_e32 v[34:35], s[24:25], v[34:35]
	s_delay_alu instid0(VALU_DEP_2) | instskip(NEXT) | instid1(VALU_DEP_1)
	v_fma_f64 v[113:114], v[26:27], s[0:1], -v[153:154]
	v_add_f64_e32 v[113:114], v[113:114], v[119:120]
	v_fma_f64 v[119:120], v[32:33], s[16:17], v[74:75]
	s_delay_alu instid0(VALU_DEP_1) | instskip(SKIP_1) | instid1(VALU_DEP_1)
	v_add_f64_e32 v[111:112], v[119:120], v[111:112]
	v_fma_f64 v[119:120], v[36:37], s[10:11], -v[76:77]
	v_add_f64_e32 v[113:114], v[119:120], v[113:114]
	v_fma_f64 v[119:120], v[40:41], s[48:49], v[22:23]
	v_fma_f64 v[22:23], v[40:41], s[38:39], v[22:23]
	s_delay_alu instid0(VALU_DEP_2) | instskip(SKIP_2) | instid1(VALU_DEP_2)
	v_add_f64_e32 v[111:112], v[119:120], v[111:112]
	v_fma_f64 v[119:120], v[44:45], s[30:31], -v[20:21]
	v_fma_f64 v[20:21], v[44:45], s[30:31], v[20:21]
	v_add_f64_e32 v[113:114], v[119:120], v[113:114]
	v_fma_f64 v[119:120], v[48:49], s[28:29], v[18:19]
	v_fma_f64 v[18:19], v[48:49], s[36:37], v[18:19]
	s_delay_alu instid0(VALU_DEP_2) | instskip(SKIP_2) | instid1(VALU_DEP_3)
	v_add_f64_e32 v[111:112], v[119:120], v[111:112]
	v_fma_f64 v[119:120], v[52:53], s[20:21], -v[16:17]
	v_fma_f64 v[16:17], v[52:53], s[20:21], v[16:17]
	v_add_f64_e32 v[10:11], v[10:11], v[111:112]
	s_delay_alu instid0(VALU_DEP_3)
	v_add_f64_e32 v[113:114], v[119:120], v[113:114]
	v_fma_f64 v[111:112], v[64:65], s[18:19], v[6:7]
	v_mul_f64_e32 v[119:120], s[12:13], v[121:122]
	v_mul_f64_e32 v[121:122], s[52:53], v[2:3]
	v_fma_f64 v[6:7], v[64:65], s[52:53], v[6:7]
	v_add_f64_e32 v[14:15], v[14:15], v[113:114]
	v_add_f64_e32 v[10:11], v[111:112], v[10:11]
	v_fma_f64 v[111:112], v[78:79], s[12:13], -v[4:5]
	v_fma_f64 v[4:5], v[78:79], s[12:13], v[4:5]
	s_delay_alu instid0(VALU_DEP_2) | instskip(SKIP_1) | instid1(VALU_DEP_1)
	v_add_f64_e32 v[14:15], v[111:112], v[14:15]
	v_fma_f64 v[111:112], v[145:146], s[40:41], v[24:25]
	v_add_f64_e32 v[113:114], v[111:112], v[10:11]
	v_mul_f64_e32 v[10:11], s[40:41], v[2:3]
	scratch_load_b64 v[2:3], off, off offset:96 th:TH_LOAD_LU ; 8-byte Folded Reload
	v_fma_f64 v[111:112], v[80:81], s[26:27], -v[10:11]
	s_delay_alu instid0(VALU_DEP_1) | instskip(SKIP_1) | instid1(VALU_DEP_1)
	v_add_f64_e32 v[111:112], v[111:112], v[14:15]
	v_mul_f64_e32 v[14:15], s[4:5], v[30:31]
	v_fma_f64 v[30:31], v[28:29], s[24:25], v[14:15]
	v_fma_f64 v[14:15], v[28:29], s[44:45], v[14:15]
	s_delay_alu instid0(VALU_DEP_2) | instskip(SKIP_1) | instid1(VALU_DEP_1)
	v_add_f64_e32 v[30:31], v[30:31], v[115:116]
	v_fma_f64 v[115:116], v[26:27], s[4:5], -v[34:35]
	v_add_f64_e32 v[115:116], v[115:116], v[117:118]
	v_fma_f64 v[117:118], v[32:33], s[40:41], v[38:39]
	s_delay_alu instid0(VALU_DEP_1) | instskip(SKIP_1) | instid1(VALU_DEP_1)
	v_add_f64_e32 v[30:31], v[117:118], v[30:31]
	v_fma_f64 v[117:118], v[36:37], s[26:27], -v[42:43]
	v_add_f64_e32 v[115:116], v[117:118], v[115:116]
	v_fma_f64 v[117:118], v[40:41], s[28:29], v[46:47]
	s_delay_alu instid0(VALU_DEP_1) | instskip(SKIP_1) | instid1(VALU_DEP_1)
	;; [unrolled: 5-line block ×4, first 2 shown]
	v_add_f64_e32 v[30:31], v[117:118], v[30:31]
	v_fma_f64 v[117:118], v[60:61], s[14:15], -v[66:67]
	v_add_f64_e32 v[115:116], v[117:118], v[115:116]
	v_fma_f64 v[117:118], v[64:65], s[38:39], v[155:156]
	s_delay_alu instid0(VALU_DEP_1) | instskip(SKIP_2) | instid1(VALU_DEP_2)
	v_add_f64_e32 v[30:31], v[117:118], v[30:31]
	v_fma_f64 v[117:118], v[78:79], s[30:31], -v[0:1]
	v_fma_f64 v[0:1], v[78:79], s[30:31], v[0:1]
	v_add_f64_e32 v[115:116], v[117:118], v[115:116]
	v_fma_f64 v[117:118], v[145:146], s[52:53], v[119:120]
	s_delay_alu instid0(VALU_DEP_1) | instskip(SKIP_1) | instid1(VALU_DEP_1)
	v_add_f64_e32 v[117:118], v[117:118], v[30:31]
	v_fma_f64 v[30:31], v[80:81], s[12:13], -v[121:122]
	v_add_f64_e32 v[115:116], v[30:31], v[115:116]
	v_fma_f64 v[30:31], v[28:29], s[16:17], v[123:124]
	v_fma_f64 v[123:124], v[32:33], s[38:39], v[127:128]
	s_delay_alu instid0(VALU_DEP_2) | instskip(SKIP_2) | instid1(VALU_DEP_3)
	v_add_f64_e32 v[30:31], v[30:31], v[86:87]
	v_fma_f64 v[86:87], v[26:27], s[10:11], -v[125:126]
	v_fma_f64 v[125:126], v[80:81], s[20:21], -v[167:168]
	v_add_f64_e32 v[30:31], v[123:124], v[30:31]
	s_wait_loadcnt 0x0
	s_delay_alu instid0(VALU_DEP_3) | instskip(SKIP_4) | instid1(VALU_DEP_1)
	v_add_f64_e32 v[86:87], v[86:87], v[2:3]
	v_fma_f64 v[123:124], v[36:37], s[30:31], -v[129:130]
	scratch_load_b64 v[2:3], off, off offset:88 th:TH_LOAD_LU ; 8-byte Folded Reload
	v_add_f64_e32 v[86:87], v[123:124], v[86:87]
	v_fma_f64 v[123:124], v[40:41], s[44:45], v[137:138]
	v_add_f64_e32 v[30:31], v[123:124], v[30:31]
	v_fma_f64 v[123:124], v[44:45], s[4:5], -v[139:140]
	s_delay_alu instid0(VALU_DEP_1) | instskip(SKIP_1) | instid1(VALU_DEP_1)
	v_add_f64_e32 v[86:87], v[123:124], v[86:87]
	v_fma_f64 v[123:124], v[48:49], s[34:35], v[141:142]
	v_add_f64_e32 v[30:31], v[123:124], v[30:31]
	v_fma_f64 v[123:124], v[52:53], s[14:15], -v[143:144]
	s_delay_alu instid0(VALU_DEP_1) | instskip(SKIP_1) | instid1(VALU_DEP_1)
	;; [unrolled: 5-line block ×3, first 2 shown]
	v_add_f64_e32 v[86:87], v[123:124], v[86:87]
	v_fma_f64 v[123:124], v[64:65], s[50:51], v[161:162]
	v_add_f64_e32 v[30:31], v[123:124], v[30:31]
	v_fma_f64 v[123:124], v[78:79], s[0:1], -v[163:164]
	s_wait_loadcnt 0x0
	v_add_f64_e32 v[14:15], v[14:15], v[2:3]
	v_fma_f64 v[2:3], v[145:146], s[46:47], v[24:25]
	s_delay_alu instid0(VALU_DEP_3) | instskip(SKIP_1) | instid1(VALU_DEP_2)
	v_add_f64_e32 v[86:87], v[123:124], v[86:87]
	v_fma_f64 v[123:124], v[145:146], s[36:37], v[165:166]
	v_add_f64_e32 v[137:138], v[125:126], v[86:87]
	s_delay_alu instid0(VALU_DEP_2) | instskip(SKIP_2) | instid1(VALU_DEP_2)
	v_add_f64_e32 v[139:140], v[123:124], v[30:31]
	v_fma_f64 v[30:31], v[26:27], s[4:5], v[34:35]
	v_fma_f64 v[34:35], v[32:33], s[46:47], v[38:39]
	v_add_f64_e32 v[30:31], v[30:31], v[131:132]
	s_delay_alu instid0(VALU_DEP_2) | instskip(SKIP_1) | instid1(VALU_DEP_1)
	v_add_f64_e32 v[14:15], v[34:35], v[14:15]
	v_fma_f64 v[34:35], v[36:37], s[26:27], v[42:43]
	v_add_f64_e32 v[30:31], v[34:35], v[30:31]
	v_fma_f64 v[34:35], v[40:41], s[36:37], v[46:47]
	s_delay_alu instid0(VALU_DEP_1) | instskip(SKIP_1) | instid1(VALU_DEP_1)
	v_add_f64_e32 v[14:15], v[34:35], v[14:15]
	v_fma_f64 v[34:35], v[44:45], s[20:21], v[50:51]
	v_add_f64_e32 v[30:31], v[34:35], v[30:31]
	v_fma_f64 v[34:35], v[48:49], s[22:23], v[54:55]
	s_delay_alu instid0(VALU_DEP_1) | instskip(SKIP_1) | instid1(VALU_DEP_1)
	;; [unrolled: 5-line block ×3, first 2 shown]
	v_add_f64_e32 v[14:15], v[34:35], v[14:15]
	v_fma_f64 v[34:35], v[60:61], s[14:15], v[66:67]
	v_add_f64_e32 v[30:31], v[34:35], v[30:31]
	v_fma_f64 v[34:35], v[64:65], s[48:49], v[155:156]
	s_delay_alu instid0(VALU_DEP_2) | instskip(NEXT) | instid1(VALU_DEP_2)
	v_add_f64_e32 v[0:1], v[0:1], v[30:31]
	v_add_f64_e32 v[14:15], v[34:35], v[14:15]
	v_fma_f64 v[34:35], v[80:81], s[12:13], v[121:122]
	v_fma_f64 v[30:31], v[145:146], s[18:19], v[119:120]
	s_delay_alu instid0(VALU_DEP_2) | instskip(SKIP_1) | instid1(VALU_DEP_3)
	v_add_f64_e32 v[123:124], v[34:35], v[0:1]
	v_fma_f64 v[0:1], v[28:29], s[22:23], v[253:254]
	v_add_f64_e32 v[125:126], v[30:31], v[14:15]
	v_fma_f64 v[30:31], v[32:33], s[42:43], v[74:75]
	v_fma_f64 v[14:15], v[26:27], s[0:1], v[153:154]
	s_delay_alu instid0(VALU_DEP_4) | instskip(NEXT) | instid1(VALU_DEP_2)
	v_add_f64_e32 v[0:1], v[0:1], v[88:89]
	v_add_f64_e32 v[14:15], v[14:15], v[133:134]
	s_delay_alu instid0(VALU_DEP_2) | instskip(SKIP_1) | instid1(VALU_DEP_2)
	v_add_f64_e32 v[0:1], v[30:31], v[0:1]
	v_fma_f64 v[30:31], v[36:37], s[10:11], v[76:77]
	v_add_f64_e32 v[0:1], v[22:23], v[0:1]
	s_delay_alu instid0(VALU_DEP_2) | instskip(NEXT) | instid1(VALU_DEP_2)
	v_add_f64_e32 v[14:15], v[30:31], v[14:15]
	v_add_f64_e32 v[0:1], v[18:19], v[0:1]
	s_delay_alu instid0(VALU_DEP_2) | instskip(NEXT) | instid1(VALU_DEP_2)
	v_add_f64_e32 v[14:15], v[20:21], v[14:15]
	v_add_f64_e32 v[0:1], v[12:13], v[0:1]
	s_delay_alu instid0(VALU_DEP_2) | instskip(NEXT) | instid1(VALU_DEP_2)
	v_add_f64_e32 v[14:15], v[16:17], v[14:15]
	v_add_f64_e32 v[0:1], v[6:7], v[0:1]
	s_delay_alu instid0(VALU_DEP_2) | instskip(SKIP_1) | instid1(VALU_DEP_3)
	v_add_f64_e32 v[8:9], v[8:9], v[14:15]
	v_fma_f64 v[6:7], v[80:81], s[26:27], v[10:11]
	v_add_f64_e32 v[129:130], v[2:3], v[0:1]
	scratch_load_b64 v[2:3], off, off offset:80 th:TH_LOAD_LU ; 8-byte Folded Reload
	v_add_f64_e32 v[4:5], v[4:5], v[8:9]
	v_fma_f64 v[0:1], v[28:29], s[18:19], v[225:226]
	scratch_load_b64 v[8:9], off, off offset:48 th:TH_LOAD_LU ; 8-byte Folded Reload
	v_add_f64_e32 v[127:128], v[6:7], v[4:5]
	v_fma_f64 v[4:5], v[32:33], s[50:51], v[229:230]
	v_fma_f64 v[6:7], v[80:81], s[4:5], v[251:252]
	s_wait_loadcnt 0x1
	v_add_f64_e32 v[0:1], v[0:1], v[2:3]
	v_fma_f64 v[2:3], v[26:27], s[12:13], v[227:228]
	s_delay_alu instid0(VALU_DEP_2) | instskip(NEXT) | instid1(VALU_DEP_2)
	v_add_f64_e32 v[0:1], v[4:5], v[0:1]
	v_add_f64_e32 v[2:3], v[2:3], v[135:136]
	v_fma_f64 v[4:5], v[36:37], s[0:1], v[231:232]
	s_delay_alu instid0(VALU_DEP_1) | instskip(SKIP_1) | instid1(VALU_DEP_1)
	v_add_f64_e32 v[2:3], v[4:5], v[2:3]
	v_fma_f64 v[4:5], v[40:41], s[42:43], v[233:234]
	v_add_f64_e32 v[0:1], v[4:5], v[0:1]
	v_fma_f64 v[4:5], v[44:45], s[10:11], v[235:236]
	s_delay_alu instid0(VALU_DEP_1) | instskip(SKIP_1) | instid1(VALU_DEP_1)
	v_add_f64_e32 v[2:3], v[4:5], v[2:3]
	v_fma_f64 v[4:5], v[48:49], s[46:47], v[237:238]
	;; [unrolled: 5-line block ×4, first 2 shown]
	v_add_f64_e32 v[0:1], v[4:5], v[0:1]
	v_fma_f64 v[4:5], v[78:79], s[14:15], v[247:248]
	s_delay_alu instid0(VALU_DEP_1) | instskip(SKIP_1) | instid1(VALU_DEP_2)
	v_add_f64_e32 v[2:3], v[4:5], v[2:3]
	v_fma_f64 v[4:5], v[145:146], s[24:25], v[249:250]
	v_add_f64_e32 v[131:132], v[6:7], v[2:3]
	scratch_load_b64 v[2:3], off, off offset:72 th:TH_LOAD_LU ; 8-byte Folded Reload
	v_add_f64_e32 v[133:134], v[4:5], v[0:1]
	scratch_load_b64 v[4:5], off, off offset:64 th:TH_LOAD_LU ; 8-byte Folded Reload
	v_fma_f64 v[0:1], v[28:29], s[34:35], v[197:198]
	v_fma_f64 v[6:7], v[80:81], s[30:31], v[223:224]
	s_wait_loadcnt 0x1
	s_delay_alu instid0(VALU_DEP_2) | instskip(SKIP_2) | instid1(VALU_DEP_1)
	v_add_f64_e32 v[0:1], v[0:1], v[2:3]
	v_fma_f64 v[2:3], v[26:27], s[14:15], v[199:200]
	s_wait_loadcnt 0x0
	v_add_f64_e32 v[2:3], v[2:3], v[4:5]
	v_fma_f64 v[4:5], v[32:33], s[18:19], v[201:202]
	s_delay_alu instid0(VALU_DEP_1) | instskip(SKIP_1) | instid1(VALU_DEP_1)
	v_add_f64_e32 v[0:1], v[4:5], v[0:1]
	v_fma_f64 v[4:5], v[36:37], s[12:13], v[203:204]
	v_add_f64_e32 v[2:3], v[4:5], v[2:3]
	v_fma_f64 v[4:5], v[40:41], s[22:23], v[205:206]
	s_delay_alu instid0(VALU_DEP_1) | instskip(SKIP_1) | instid1(VALU_DEP_1)
	v_add_f64_e32 v[0:1], v[4:5], v[0:1]
	v_fma_f64 v[4:5], v[44:45], s[0:1], v[207:208]
	;; [unrolled: 5-line block ×5, first 2 shown]
	v_add_f64_e32 v[2:3], v[4:5], v[2:3]
	v_fma_f64 v[4:5], v[145:146], s[38:39], v[221:222]
	s_delay_alu instid0(VALU_DEP_2)
	v_add_f64_e32 v[86:87], v[6:7], v[2:3]
	scratch_load_b64 v[6:7], off, off offset:56 th:TH_LOAD_LU ; 8-byte Folded Reload
	v_add_f64_e32 v[88:89], v[4:5], v[0:1]
	v_fma_f64 v[0:1], v[28:29], s[40:41], v[169:170]
	v_fma_f64 v[2:3], v[26:27], s[26:27], v[171:172]
	;; [unrolled: 1-line block ×3, first 2 shown]
	s_delay_alu instid0(VALU_DEP_2) | instskip(SKIP_4) | instid1(VALU_DEP_2)
	v_add_f64_e32 v[2:3], v[2:3], v[8:9]
	v_fma_f64 v[8:9], v[40:41], s[34:35], v[177:178]
	s_wait_loadcnt 0x0
	v_add_f64_e32 v[0:1], v[0:1], v[6:7]
	v_fma_f64 v[6:7], v[36:37], s[20:21], v[175:176]
	v_add_f64_e32 v[0:1], v[4:5], v[0:1]
	v_fma_f64 v[4:5], v[44:45], s[14:15], v[179:180]
	s_delay_alu instid0(VALU_DEP_3) | instskip(SKIP_1) | instid1(VALU_DEP_4)
	v_add_f64_e32 v[2:3], v[6:7], v[2:3]
	v_fma_f64 v[6:7], v[48:49], s[16:17], v[181:182]
	v_add_f64_e32 v[0:1], v[8:9], v[0:1]
	v_fma_f64 v[8:9], v[52:53], s[10:11], v[183:184]
	s_delay_alu instid0(VALU_DEP_4) | instskip(SKIP_1) | instid1(VALU_DEP_4)
	v_add_f64_e32 v[2:3], v[4:5], v[2:3]
	v_fma_f64 v[4:5], v[56:57], s[18:19], v[185:186]
	v_add_f64_e32 v[0:1], v[6:7], v[0:1]
	v_fma_f64 v[6:7], v[60:61], s[12:13], v[187:188]
	s_delay_alu instid0(VALU_DEP_4) | instskip(SKIP_1) | instid1(VALU_DEP_4)
	;; [unrolled: 5-line block ×3, first 2 shown]
	v_add_f64_e32 v[2:3], v[6:7], v[2:3]
	v_fma_f64 v[6:7], v[145:146], s[22:23], v[193:194]
	v_add_f64_e32 v[0:1], v[8:9], v[0:1]
	v_fma_f64 v[8:9], v[80:81], s[0:1], v[195:196]
	s_delay_alu instid0(VALU_DEP_4) | instskip(NEXT) | instid1(VALU_DEP_3)
	v_add_f64_e32 v[2:3], v[4:5], v[2:3]
	v_add_f64_e32 v[18:19], v[6:7], v[0:1]
	v_lshl_add_u32 v0, v70, 8, v90
	s_delay_alu instid0(VALU_DEP_3)
	v_add_f64_e32 v[16:17], v[8:9], v[2:3]
	scratch_load_b128 v[1:4], off, off offset:16 th:TH_LOAD_LU ; 16-byte Folded Reload
	s_wait_loadcnt 0x0
	ds_store_b128 v0, v[1:4]
	ds_store_b128 v0, v[99:102] offset:16
	scratch_load_b64 v[100:101], off, off   ; 8-byte Folded Reload
	ds_store_b128 v0, v[103:106] offset:32
	scratch_load_b64 v[102:103], off, off offset:8 ; 8-byte Folded Reload
	ds_store_b128 v0, v[107:110] offset:48
	ds_store_b128 v0, v[111:114] offset:64
	ds_store_b128 v0, v[115:118] offset:80
	ds_store_b128 v0, v[137:140] offset:96
	ds_store_b128 v0, v[91:94] offset:112
	ds_store_b128 v0, v[147:150] offset:128
	scratch_load_b128 v[1:4], off, off offset:32 th:TH_LOAD_LU ; 16-byte Folded Reload
	s_wait_loadcnt 0x0
	ds_store_b128 v0, v[1:4] offset:144
	ds_store_b128 v0, v[82:85] offset:160
	;; [unrolled: 1-line block ×8, first 2 shown]
.LBB0_21:
	s_or_b32 exec_lo, exec_lo, s33
	v_add_nc_u16 v0, v70, 51
	v_and_b32_e32 v1, 0xff, v70
	v_add_nc_u16 v2, v70, 0x66
	v_add_nc_u16 v4, v70, 0x99
	global_wb scope:SCOPE_SE
	s_wait_storecnt_dscnt 0x0
	v_and_b32_e32 v3, 0xff, v0
	v_mul_lo_u16 v1, 0xf1, v1
	v_and_b32_e32 v5, 0xff, v2
	s_barrier_signal -1
	s_barrier_wait -1
	v_mul_lo_u16 v3, 0xf1, v3
	v_lshrrev_b16 v71, 12, v1
	v_and_b32_e32 v1, 0xff, v4
	v_mul_lo_u16 v5, 0xf1, v5
	global_inv scope:SCOPE_SE
	v_lshrrev_b16 v93, 12, v3
	v_mul_lo_u16 v3, v71, 17
	v_mul_lo_u16 v1, 0xf1, v1
	v_lshrrev_b16 v94, 12, v5
	s_mov_b32 s4, 0xe8584caa
	v_mul_lo_u16 v5, v93, 17
	v_sub_nc_u16 v3, v70, v3
	v_lshrrev_b16 v95, 12, v1
	v_mul_lo_u16 v1, v94, 17
	s_mov_b32 s5, 0x3febb67a
	v_sub_nc_u16 v0, v0, v5
	v_and_b32_e32 v96, 0xff, v3
	v_mul_lo_u16 v3, v95, 17
	v_sub_nc_u16 v1, v2, v1
	s_mov_b32 s1, 0xbfebb67a
	v_and_b32_e32 v97, 0xff, v0
	v_lshlrev_b32_e32 v5, 5, v96
	v_sub_nc_u16 v8, v4, v3
	v_and_b32_e32 v98, 0xff, v1
	s_wait_alu 0xfffe
	s_mov_b32 s0, s4
	v_lshlrev_b32_e32 v12, 5, v97
	s_clause 0x1
	global_load_b128 v[0:3], v5, s[8:9]
	global_load_b128 v[4:7], v5, s[8:9] offset:16
	v_and_b32_e32 v99, 0xff, v8
	v_lshlrev_b32_e32 v20, 5, v98
	s_clause 0x1
	global_load_b128 v[8:11], v12, s[8:9]
	global_load_b128 v[12:15], v12, s[8:9] offset:16
	v_lshlrev_b32_e32 v28, 5, v99
	s_clause 0x3
	global_load_b128 v[16:19], v20, s[8:9]
	global_load_b128 v[20:23], v20, s[8:9] offset:16
	global_load_b128 v[24:27], v28, s[8:9]
	global_load_b128 v[28:31], v28, s[8:9] offset:16
	ds_load_b128 v[32:35], v90 offset:3264
	ds_load_b128 v[36:39], v90 offset:6528
	;; [unrolled: 1-line block ×8, first 2 shown]
	s_wait_loadcnt_dscnt 0x707
	v_mul_f64_e32 v[64:65], v[34:35], v[2:3]
	v_mul_f64_e32 v[2:3], v[32:33], v[2:3]
	s_wait_loadcnt_dscnt 0x606
	v_mul_f64_e32 v[66:67], v[38:39], v[6:7]
	v_mul_f64_e32 v[6:7], v[36:37], v[6:7]
	s_wait_loadcnt_dscnt 0x505
	v_mul_f64_e32 v[74:75], v[42:43], v[10:11]
	v_mul_f64_e32 v[10:11], v[40:41], v[10:11]
	s_wait_loadcnt_dscnt 0x404
	v_mul_f64_e32 v[76:77], v[46:47], v[14:15]
	v_mul_f64_e32 v[14:15], v[44:45], v[14:15]
	s_wait_loadcnt_dscnt 0x303
	v_mul_f64_e32 v[78:79], v[50:51], v[18:19]
	v_mul_f64_e32 v[18:19], v[48:49], v[18:19]
	s_wait_loadcnt_dscnt 0x202
	v_mul_f64_e32 v[80:81], v[54:55], v[22:23]
	v_mul_f64_e32 v[22:23], v[52:53], v[22:23]
	s_wait_loadcnt_dscnt 0x101
	v_mul_f64_e32 v[82:83], v[58:59], v[26:27]
	v_mul_f64_e32 v[26:27], v[56:57], v[26:27]
	s_wait_loadcnt_dscnt 0x0
	v_mul_f64_e32 v[84:85], v[62:63], v[30:31]
	v_mul_f64_e32 v[30:31], v[60:61], v[30:31]
	v_fma_f64 v[32:33], v[32:33], v[0:1], -v[64:65]
	v_fma_f64 v[34:35], v[34:35], v[0:1], v[2:3]
	v_fma_f64 v[36:37], v[36:37], v[4:5], -v[66:67]
	v_fma_f64 v[38:39], v[38:39], v[4:5], v[6:7]
	;; [unrolled: 2-line block ×8, first 2 shown]
	ds_load_b128 v[0:3], v90
	ds_load_b128 v[4:7], v90 offset:816
	ds_load_b128 v[8:11], v90 offset:1632
	;; [unrolled: 1-line block ×3, first 2 shown]
	global_wb scope:SCOPE_SE
	s_wait_dscnt 0x0
	s_barrier_signal -1
	s_barrier_wait -1
	global_inv scope:SCOPE_SE
	v_add_f64_e32 v[64:65], v[0:1], v[32:33]
	v_add_f64_e32 v[30:31], v[32:33], v[36:37]
	v_add_f64_e32 v[50:51], v[34:35], v[38:39]
	v_add_f64_e64 v[66:67], v[34:35], -v[38:39]
	v_add_f64_e32 v[34:35], v[2:3], v[34:35]
	v_add_f64_e32 v[52:53], v[40:41], v[44:45]
	;; [unrolled: 1-line block ×4, first 2 shown]
	v_add_f64_e64 v[32:33], v[32:33], -v[36:37]
	v_add_f64_e32 v[56:57], v[48:49], v[18:19]
	v_add_f64_e32 v[58:59], v[16:17], v[20:21]
	;; [unrolled: 1-line block ×8, first 2 shown]
	v_add_f64_e64 v[42:43], v[42:43], -v[46:47]
	v_add_f64_e64 v[40:41], v[40:41], -v[44:45]
	v_add_f64_e32 v[84:85], v[14:15], v[24:25]
	v_add_f64_e64 v[86:87], v[16:17], -v[20:21]
	v_add_f64_e64 v[48:49], v[48:49], -v[18:19]
	;; [unrolled: 1-line block ×4, first 2 shown]
	v_fma_f64 v[30:31], v[30:31], -0.5, v[0:1]
	v_fma_f64 v[50:51], v[50:51], -0.5, v[2:3]
	v_add_f64_e32 v[0:1], v[64:65], v[36:37]
	v_add_f64_e32 v[2:3], v[34:35], v[38:39]
	v_fma_f64 v[52:53], v[52:53], -0.5, v[4:5]
	v_fma_f64 v[54:55], v[54:55], -0.5, v[6:7]
	;; [unrolled: 1-line block ×4, first 2 shown]
	v_add_f64_e32 v[8:9], v[78:79], v[18:19]
	v_add_f64_e32 v[10:11], v[80:81], v[20:21]
	v_fma_f64 v[60:61], v[60:61], -0.5, v[12:13]
	v_fma_f64 v[62:63], v[62:63], -0.5, v[14:15]
	v_add_f64_e32 v[4:5], v[74:75], v[44:45]
	v_add_f64_e32 v[6:7], v[76:77], v[46:47]
	;; [unrolled: 1-line block ×4, first 2 shown]
	v_fma_f64 v[16:17], v[66:67], s[4:5], v[30:31]
	s_wait_alu 0xfffe
	v_fma_f64 v[18:19], v[32:33], s[0:1], v[50:51]
	v_fma_f64 v[20:21], v[66:67], s[0:1], v[30:31]
	;; [unrolled: 1-line block ×15, first 2 shown]
	v_and_b32_e32 v48, 0xffff, v71
	v_and_b32_e32 v50, 0xffff, v93
	v_lshlrev_b32_e32 v53, 4, v96
	v_mul_u32_u24_e32 v49, 5, v70
	v_and_b32_e32 v51, 0xffff, v94
	v_mul_u32_u24_e32 v48, 0x330, v48
	v_and_b32_e32 v52, 0xffff, v95
	v_mul_u32_u24_e32 v50, 0x330, v50
	v_lshlrev_b32_e32 v49, 4, v49
	v_mul_u32_u24_e32 v51, 0x330, v51
	v_add3_u32 v48, 0, v48, v53
	v_lshlrev_b32_e32 v53, 4, v97
	v_mul_u32_u24_e32 v52, 0x330, v52
	v_lshlrev_b32_e32 v54, 4, v98
	v_lshlrev_b32_e32 v55, 4, v99
	s_delay_alu instid0(VALU_DEP_4) | instskip(NEXT) | instid1(VALU_DEP_3)
	v_add3_u32 v50, 0, v50, v53
	v_add3_u32 v51, 0, v51, v54
	s_delay_alu instid0(VALU_DEP_3)
	v_add3_u32 v52, 0, v52, v55
	ds_store_b128 v48, v[0:3]
	ds_store_b128 v48, v[16:19] offset:272
	ds_store_b128 v48, v[20:23] offset:544
	ds_store_b128 v50, v[4:7]
	ds_store_b128 v50, v[24:27] offset:272
	ds_store_b128 v50, v[28:31] offset:544
	;; [unrolled: 3-line block ×4, first 2 shown]
	global_wb scope:SCOPE_SE
	s_wait_dscnt 0x0
	s_barrier_signal -1
	s_barrier_wait -1
	global_inv scope:SCOPE_SE
	s_clause 0x4
	global_load_b128 v[0:3], v49, s[8:9] offset:576
	global_load_b128 v[4:7], v49, s[8:9] offset:608
	;; [unrolled: 1-line block ×5, first 2 shown]
	ds_load_b128 v[20:23], v90 offset:4896
	ds_load_b128 v[24:27], v90 offset:8160
	;; [unrolled: 1-line block ×6, first 2 shown]
	s_wait_loadcnt_dscnt 0x405
	v_mul_f64_e32 v[44:45], v[22:23], v[2:3]
	v_mul_f64_e32 v[46:47], v[20:21], v[2:3]
	s_wait_loadcnt_dscnt 0x304
	v_mul_f64_e32 v[48:49], v[24:25], v[6:7]
	v_mul_f64_e32 v[50:51], v[26:27], v[6:7]
	s_wait_dscnt 0x3
	v_mul_f64_e32 v[52:53], v[30:31], v[2:3]
	v_mul_f64_e32 v[2:3], v[28:29], v[2:3]
	s_wait_dscnt 0x2
	v_mul_f64_e32 v[54:55], v[32:33], v[6:7]
	v_mul_f64_e32 v[6:7], v[34:35], v[6:7]
	s_wait_loadcnt_dscnt 0x201
	v_mul_f64_e32 v[56:57], v[38:39], v[10:11]
	v_mul_f64_e32 v[58:59], v[36:37], v[10:11]
	s_wait_dscnt 0x0
	v_mul_f64_e32 v[60:61], v[42:43], v[10:11]
	v_mul_f64_e32 v[10:11], v[40:41], v[10:11]
	v_fma_f64 v[44:45], v[20:21], v[0:1], -v[44:45]
	v_fma_f64 v[46:47], v[22:23], v[0:1], v[46:47]
	v_fma_f64 v[48:49], v[26:27], v[4:5], v[48:49]
	v_fma_f64 v[50:51], v[24:25], v[4:5], -v[50:51]
	v_fma_f64 v[28:29], v[28:29], v[0:1], -v[52:53]
	v_fma_f64 v[30:31], v[30:31], v[0:1], v[2:3]
	v_fma_f64 v[34:35], v[34:35], v[4:5], v[54:55]
	v_fma_f64 v[32:33], v[32:33], v[4:5], -v[6:7]
	ds_load_b128 v[0:3], v90 offset:3264
	ds_load_b128 v[4:7], v90 offset:6528
	;; [unrolled: 1-line block ×4, first 2 shown]
	v_fma_f64 v[36:37], v[36:37], v[8:9], -v[56:57]
	v_fma_f64 v[38:39], v[38:39], v[8:9], v[58:59]
	v_fma_f64 v[40:41], v[40:41], v[8:9], -v[60:61]
	v_fma_f64 v[8:9], v[42:43], v[8:9], v[10:11]
	s_wait_loadcnt_dscnt 0x103
	v_mul_f64_e32 v[52:53], v[2:3], v[14:15]
	v_mul_f64_e32 v[54:55], v[0:1], v[14:15]
	s_wait_loadcnt_dscnt 0x2
	v_mul_f64_e32 v[62:63], v[6:7], v[18:19]
	v_mul_f64_e32 v[64:65], v[4:5], v[18:19]
	s_wait_dscnt 0x1
	v_mul_f64_e32 v[66:67], v[22:23], v[14:15]
	v_mul_f64_e32 v[14:15], v[20:21], v[14:15]
	s_wait_dscnt 0x0
	v_mul_f64_e32 v[74:75], v[26:27], v[18:19]
	v_mul_f64_e32 v[18:19], v[24:25], v[18:19]
	v_add_f64_e32 v[56:57], v[46:47], v[48:49]
	v_add_f64_e32 v[58:59], v[44:45], v[50:51]
	;; [unrolled: 1-line block ×4, first 2 shown]
	v_fma_f64 v[52:53], v[0:1], v[12:13], -v[52:53]
	v_fma_f64 v[54:55], v[2:3], v[12:13], v[54:55]
	v_fma_f64 v[60:61], v[4:5], v[16:17], -v[62:63]
	v_fma_f64 v[62:63], v[6:7], v[16:17], v[64:65]
	v_add_f64_e64 v[0:1], v[46:47], -v[48:49]
	v_add_f64_e64 v[2:3], v[44:45], -v[50:51]
	v_fma_f64 v[20:21], v[20:21], v[12:13], -v[66:67]
	v_fma_f64 v[12:13], v[22:23], v[12:13], v[14:15]
	v_fma_f64 v[14:15], v[24:25], v[16:17], -v[74:75]
	v_fma_f64 v[16:17], v[26:27], v[16:17], v[18:19]
	v_add_f64_e64 v[18:19], v[30:31], -v[34:35]
	v_add_f64_e64 v[22:23], v[28:29], -v[32:33]
	v_add_f64_e32 v[28:29], v[40:41], v[28:29]
	v_fma_f64 v[4:5], v[56:57], -0.5, v[38:39]
	v_fma_f64 v[6:7], v[58:59], -0.5, v[36:37]
	v_add_f64_e32 v[36:37], v[36:37], v[44:45]
	v_add_f64_e32 v[38:39], v[38:39], v[46:47]
	v_fma_f64 v[10:11], v[10:11], -0.5, v[8:9]
	v_fma_f64 v[24:25], v[42:43], -0.5, v[40:41]
	v_add_f64_e32 v[8:9], v[8:9], v[30:31]
	v_add_f64_e32 v[26:27], v[52:53], v[60:61]
	;; [unrolled: 1-line block ×6, first 2 shown]
	v_fma_f64 v[56:57], v[2:3], s[0:1], v[4:5]
	v_fma_f64 v[64:65], v[0:1], s[4:5], v[6:7]
	;; [unrolled: 1-line block ×8, first 2 shown]
	ds_load_b128 v[0:3], v90
	ds_load_b128 v[4:7], v90 offset:816
	v_add_f64_e64 v[24:25], v[54:55], -v[62:63]
	v_add_f64_e32 v[36:37], v[36:37], v[50:51]
	v_add_f64_e32 v[38:39], v[38:39], v[48:49]
	v_add_f64_e32 v[32:33], v[8:9], v[34:35]
	global_wb scope:SCOPE_SE
	s_wait_dscnt 0x0
	s_barrier_signal -1
	s_barrier_wait -1
	global_inv scope:SCOPE_SE
	v_add_f64_e32 v[22:23], v[0:1], v[52:53]
	v_add_f64_e32 v[54:55], v[2:3], v[54:55]
	;; [unrolled: 1-line block ×4, first 2 shown]
	v_fma_f64 v[0:1], v[26:27], -0.5, v[0:1]
	v_add_f64_e64 v[26:27], v[52:53], -v[60:61]
	v_fma_f64 v[2:3], v[42:43], -0.5, v[2:3]
	v_add_f64_e64 v[12:13], v[12:13], -v[16:17]
	;; [unrolled: 2-line block ×3, first 2 shown]
	v_mul_f64_e32 v[30:31], s[4:5], v[56:57]
	v_mul_f64_e32 v[42:43], s[0:1], v[64:65]
	v_mul_f64_e32 v[40:41], -0.5, v[58:59]
	v_mul_f64_e32 v[52:53], -0.5, v[66:67]
	v_fma_f64 v[6:7], v[76:77], -0.5, v[6:7]
	v_mul_f64_e32 v[74:75], s[4:5], v[78:79]
	v_mul_f64_e32 v[82:83], s[0:1], v[18:19]
	v_mul_f64_e32 v[76:77], -0.5, v[80:81]
	v_mul_f64_e32 v[84:85], -0.5, v[10:11]
	v_add_f64_e32 v[22:23], v[22:23], v[60:61]
	v_add_f64_e32 v[54:55], v[54:55], v[62:63]
	v_add_f64_e32 v[14:15], v[44:45], v[14:15]
	v_add_f64_e32 v[16:17], v[46:47], v[16:17]
	v_fma_f64 v[34:35], v[24:25], s[4:5], v[0:1]
	v_fma_f64 v[44:45], v[24:25], s[0:1], v[0:1]
	;; [unrolled: 1-line block ×5, first 2 shown]
	v_fma_f64 v[24:25], v[64:65], 0.5, v[30:31]
	v_fma_f64 v[30:31], v[56:57], 0.5, v[42:43]
	v_fma_f64 v[26:27], v[66:67], s[4:5], v[40:41]
	v_fma_f64 v[40:41], v[58:59], s[0:1], v[52:53]
	;; [unrolled: 1-line block ×4, first 2 shown]
	v_fma_f64 v[58:59], v[18:19], 0.5, v[74:75]
	v_fma_f64 v[62:63], v[78:79], 0.5, v[82:83]
	v_fma_f64 v[56:57], v[20:21], s[4:5], v[6:7]
	v_fma_f64 v[60:61], v[10:11], s[4:5], v[76:77]
	;; [unrolled: 1-line block ×3, first 2 shown]
	v_add_f64_e32 v[0:1], v[22:23], v[36:37]
	v_add_f64_e32 v[2:3], v[54:55], v[38:39]
	v_add_f64_e32 v[8:9], v[14:15], v[28:29]
	v_add_f64_e32 v[10:11], v[16:17], v[32:33]
	v_add_f64_e64 v[12:13], v[14:15], -v[28:29]
	v_add_f64_e64 v[14:15], v[16:17], -v[32:33]
	v_add_f64_e64 v[4:5], v[22:23], -v[36:37]
	v_add_f64_e64 v[6:7], v[54:55], -v[38:39]
	v_add_f64_e32 v[16:17], v[34:35], v[24:25]
	v_add_f64_e32 v[18:19], v[46:47], v[30:31]
	v_add_f64_e32 v[20:21], v[44:45], v[26:27]
	v_add_f64_e32 v[22:23], v[48:49], v[40:41]
	v_add_f64_e64 v[24:25], v[34:35], -v[24:25]
	v_add_f64_e64 v[28:29], v[44:45], -v[26:27]
	v_add_f64_e64 v[26:27], v[46:47], -v[30:31]
	v_add_f64_e64 v[30:31], v[48:49], -v[40:41]
	;; [unrolled: 8-line block ×3, first 2 shown]
	v_add_co_u32 v48, s0, s8, v100
	s_wait_alu 0xf1ff
	v_add_co_ci_u32_e64 v49, s0, s9, v101, s0
	v_add_co_u32 v50, s0, s8, v102
	s_wait_alu 0xf1ff
	v_add_co_ci_u32_e64 v51, s0, s9, v103, s0
	ds_store_b128 v90, v[0:3]
	ds_store_b128 v90, v[16:19] offset:816
	ds_store_b128 v90, v[20:23] offset:1632
	;; [unrolled: 1-line block ×11, first 2 shown]
	global_wb scope:SCOPE_SE
	s_wait_dscnt 0x0
	s_barrier_signal -1
	s_barrier_wait -1
	global_inv scope:SCOPE_SE
	s_clause 0x5
	global_load_b128 v[0:3], v[48:49], off offset:4624
	global_load_b128 v[4:7], v[50:51], off offset:5440
	;; [unrolled: 1-line block ×6, first 2 shown]
	ds_load_b128 v[24:27], v90 offset:4896
	ds_load_b128 v[28:31], v90 offset:5712
	;; [unrolled: 1-line block ×6, first 2 shown]
	s_wait_loadcnt_dscnt 0x505
	v_mul_f64_e32 v[48:49], v[26:27], v[2:3]
	v_mul_f64_e32 v[2:3], v[24:25], v[2:3]
	s_wait_loadcnt_dscnt 0x404
	v_mul_f64_e32 v[50:51], v[30:31], v[6:7]
	v_mul_f64_e32 v[6:7], v[28:29], v[6:7]
	s_wait_loadcnt_dscnt 0x303
	v_mul_f64_e32 v[52:53], v[34:35], v[10:11]
	v_mul_f64_e32 v[10:11], v[32:33], v[10:11]
	s_wait_loadcnt_dscnt 0x202
	v_mul_f64_e32 v[54:55], v[38:39], v[14:15]
	v_mul_f64_e32 v[14:15], v[36:37], v[14:15]
	s_wait_loadcnt_dscnt 0x101
	v_mul_f64_e32 v[56:57], v[42:43], v[18:19]
	v_mul_f64_e32 v[18:19], v[40:41], v[18:19]
	s_wait_loadcnt_dscnt 0x0
	v_mul_f64_e32 v[58:59], v[46:47], v[22:23]
	v_mul_f64_e32 v[22:23], v[44:45], v[22:23]
	v_fma_f64 v[24:25], v[24:25], v[0:1], -v[48:49]
	v_fma_f64 v[26:27], v[26:27], v[0:1], v[2:3]
	v_fma_f64 v[28:29], v[28:29], v[4:5], -v[50:51]
	v_fma_f64 v[30:31], v[30:31], v[4:5], v[6:7]
	;; [unrolled: 2-line block ×6, first 2 shown]
	ds_load_b128 v[0:3], v90
	ds_load_b128 v[4:7], v90 offset:816
	ds_load_b128 v[8:11], v90 offset:1632
	;; [unrolled: 1-line block ×5, first 2 shown]
	global_wb scope:SCOPE_SE
	s_wait_dscnt 0x0
	s_barrier_signal -1
	s_barrier_wait -1
	global_inv scope:SCOPE_SE
	v_add_f64_e64 v[24:25], v[0:1], -v[24:25]
	v_add_f64_e64 v[26:27], v[2:3], -v[26:27]
	;; [unrolled: 1-line block ×12, first 2 shown]
	v_fma_f64 v[0:1], v[0:1], 2.0, -v[24:25]
	v_fma_f64 v[2:3], v[2:3], 2.0, -v[26:27]
	;; [unrolled: 1-line block ×12, first 2 shown]
	ds_store_b128 v90, v[24:27] offset:4896
	ds_store_b128 v90, v[28:31] offset:5712
	;; [unrolled: 1-line block ×6, first 2 shown]
	ds_store_b128 v90, v[0:3]
	ds_store_b128 v90, v[4:7] offset:816
	ds_store_b128 v90, v[8:11] offset:1632
	;; [unrolled: 1-line block ×5, first 2 shown]
	global_wb scope:SCOPE_SE
	s_wait_dscnt 0x0
	s_barrier_signal -1
	s_barrier_wait -1
	global_inv scope:SCOPE_SE
	s_and_saveexec_b32 s0, vcc_lo
	s_cbranch_execz .LBB0_23
; %bb.22:
	v_mul_lo_u32 v2, s3, v72
	v_mul_lo_u32 v3, s2, v73
	v_mad_co_u64_u32 v[0:1], null, s2, v72, 0
	v_lshl_add_u32 v34, v70, 4, 0
	v_dual_mov_b32 v71, 0 :: v_dual_add_nc_u32 v12, 51, v70
	v_lshlrev_b64_e32 v[8:9], 4, v[68:69]
	v_add_nc_u32_e32 v22, 0xff, v70
	s_delay_alu instid0(VALU_DEP_3) | instskip(SKIP_4) | instid1(VALU_DEP_4)
	v_dual_mov_b32 v25, v71 :: v_dual_add_nc_u32 v24, 0x132, v70
	v_add3_u32 v1, v1, v3, v2
	v_mov_b32_e32 v13, v71
	v_lshlrev_b64_e32 v[14:15], 4, v[70:71]
	v_mov_b32_e32 v23, v71
	v_lshlrev_b64_e32 v[10:11], 4, v[0:1]
	ds_load_b128 v[0:3], v34
	ds_load_b128 v[4:7], v34 offset:816
	v_lshlrev_b64_e32 v[22:23], 4, v[22:23]
	v_add_co_u32 v10, vcc_lo, s6, v10
	s_wait_alu 0xfffd
	v_add_co_ci_u32_e32 v11, vcc_lo, s7, v11, vcc_lo
	s_delay_alu instid0(VALU_DEP_2) | instskip(SKIP_1) | instid1(VALU_DEP_2)
	v_add_co_u32 v36, vcc_lo, v10, v8
	s_wait_alu 0xfffd
	v_add_co_ci_u32_e32 v37, vcc_lo, v11, v9, vcc_lo
	v_lshlrev_b64_e32 v[8:9], 4, v[12:13]
	v_add_nc_u32_e32 v12, 0x66, v70
	v_add_co_u32 v10, vcc_lo, v36, v14
	s_wait_alu 0xfffd
	v_add_co_ci_u32_e32 v11, vcc_lo, v37, v15, vcc_lo
	s_delay_alu instid0(VALU_DEP_4)
	v_add_co_u32 v8, vcc_lo, v36, v8
	s_wait_alu 0xfffd
	v_add_co_ci_u32_e32 v9, vcc_lo, v37, v9, vcc_lo
	s_wait_dscnt 0x1
	global_store_b128 v[10:11], v[0:3], off
	s_wait_dscnt 0x0
	global_store_b128 v[8:9], v[4:7], off
	v_lshlrev_b64_e32 v[0:1], 4, v[12:13]
	v_dual_mov_b32 v9, v71 :: v_dual_add_nc_u32 v8, 0x99, v70
	v_dual_mov_b32 v11, v71 :: v_dual_add_nc_u32 v10, 0xcc, v70
	s_delay_alu instid0(VALU_DEP_3) | instskip(SKIP_1) | instid1(VALU_DEP_4)
	v_add_co_u32 v16, vcc_lo, v36, v0
	s_wait_alu 0xfffd
	v_add_co_ci_u32_e32 v17, vcc_lo, v37, v1, vcc_lo
	ds_load_b128 v[0:3], v34 offset:1632
	ds_load_b128 v[4:7], v34 offset:2448
	v_lshlrev_b64_e32 v[18:19], 4, v[8:9]
	v_lshlrev_b64_e32 v[20:21], 4, v[10:11]
	ds_load_b128 v[8:11], v34 offset:3264
	ds_load_b128 v[12:15], v34 offset:4080
	v_add_co_u32 v18, vcc_lo, v36, v18
	s_wait_alu 0xfffd
	v_add_co_ci_u32_e32 v19, vcc_lo, v37, v19, vcc_lo
	v_add_co_u32 v20, vcc_lo, v36, v20
	s_wait_alu 0xfffd
	v_add_co_ci_u32_e32 v21, vcc_lo, v37, v21, vcc_lo
	v_add_co_u32 v22, vcc_lo, v36, v22
	s_wait_dscnt 0x3
	global_store_b128 v[16:17], v[0:3], off
	s_wait_dscnt 0x2
	global_store_b128 v[18:19], v[4:7], off
	v_dual_mov_b32 v3, v71 :: v_dual_add_nc_u32 v2, 0x165, v70
	s_wait_alu 0xfffd
	v_add_co_ci_u32_e32 v23, vcc_lo, v37, v23, vcc_lo
	v_lshlrev_b64_e32 v[0:1], 4, v[24:25]
	s_wait_dscnt 0x1
	global_store_b128 v[20:21], v[8:11], off
	s_wait_dscnt 0x0
	global_store_b128 v[22:23], v[12:15], off
	v_lshlrev_b64_e32 v[8:9], 4, v[2:3]
	v_dual_mov_b32 v11, v71 :: v_dual_add_nc_u32 v10, 0x198, v70
	v_add_co_u32 v24, vcc_lo, v36, v0
	s_wait_alu 0xfffd
	v_add_co_ci_u32_e32 v25, vcc_lo, v37, v1, vcc_lo
	s_delay_alu instid0(VALU_DEP_4)
	v_add_co_u32 v26, vcc_lo, v36, v8
	s_wait_alu 0xfffd
	v_add_co_ci_u32_e32 v27, vcc_lo, v37, v9, vcc_lo
	v_lshlrev_b64_e32 v[8:9], 4, v[10:11]
	v_dual_mov_b32 v17, v71 :: v_dual_add_nc_u32 v16, 0x1cb, v70
	v_dual_mov_b32 v19, v71 :: v_dual_add_nc_u32 v18, 0x1fe, v70
	ds_load_b128 v[0:3], v34 offset:4896
	ds_load_b128 v[4:7], v34 offset:5712
	v_add_co_u32 v28, vcc_lo, v36, v8
	s_wait_alu 0xfffd
	v_add_co_ci_u32_e32 v29, vcc_lo, v37, v9, vcc_lo
	ds_load_b128 v[8:11], v34 offset:6528
	ds_load_b128 v[12:15], v34 offset:7344
	v_lshlrev_b64_e32 v[30:31], 4, v[16:17]
	v_lshlrev_b64_e32 v[32:33], 4, v[18:19]
	ds_load_b128 v[16:19], v34 offset:8160
	ds_load_b128 v[20:23], v34 offset:8976
	v_add_nc_u32_e32 v70, 0x231, v70
	v_add_co_u32 v30, vcc_lo, v36, v30
	s_delay_alu instid0(VALU_DEP_2)
	v_lshlrev_b64_e32 v[34:35], 4, v[70:71]
	s_wait_alu 0xfffd
	v_add_co_ci_u32_e32 v31, vcc_lo, v37, v31, vcc_lo
	v_add_co_u32 v32, vcc_lo, v36, v32
	s_wait_alu 0xfffd
	v_add_co_ci_u32_e32 v33, vcc_lo, v37, v33, vcc_lo
	v_add_co_u32 v34, vcc_lo, v36, v34
	s_wait_alu 0xfffd
	v_add_co_ci_u32_e32 v35, vcc_lo, v37, v35, vcc_lo
	s_wait_dscnt 0x5
	global_store_b128 v[24:25], v[0:3], off
	s_wait_dscnt 0x4
	global_store_b128 v[26:27], v[4:7], off
	;; [unrolled: 2-line block ×6, first 2 shown]
.LBB0_23:
	s_nop 0
	s_sendmsg sendmsg(MSG_DEALLOC_VGPRS)
	s_endpgm
	.section	.rodata,"a",@progbits
	.p2align	6, 0x0
	.amdhsa_kernel fft_rtc_fwd_len612_factors_17_3_6_2_wgs_51_tpt_51_halfLds_dp_op_CI_CI_unitstride_sbrr_C2R_dirReg
		.amdhsa_group_segment_fixed_size 0
		.amdhsa_private_segment_fixed_size 108
		.amdhsa_kernarg_size 104
		.amdhsa_user_sgpr_count 2
		.amdhsa_user_sgpr_dispatch_ptr 0
		.amdhsa_user_sgpr_queue_ptr 0
		.amdhsa_user_sgpr_kernarg_segment_ptr 1
		.amdhsa_user_sgpr_dispatch_id 0
		.amdhsa_user_sgpr_private_segment_size 0
		.amdhsa_wavefront_size32 1
		.amdhsa_uses_dynamic_stack 0
		.amdhsa_enable_private_segment 1
		.amdhsa_system_sgpr_workgroup_id_x 1
		.amdhsa_system_sgpr_workgroup_id_y 0
		.amdhsa_system_sgpr_workgroup_id_z 0
		.amdhsa_system_sgpr_workgroup_info 0
		.amdhsa_system_vgpr_workitem_id 0
		.amdhsa_next_free_vgpr 255
		.amdhsa_next_free_sgpr 56
		.amdhsa_reserve_vcc 1
		.amdhsa_float_round_mode_32 0
		.amdhsa_float_round_mode_16_64 0
		.amdhsa_float_denorm_mode_32 3
		.amdhsa_float_denorm_mode_16_64 3
		.amdhsa_fp16_overflow 0
		.amdhsa_workgroup_processor_mode 1
		.amdhsa_memory_ordered 1
		.amdhsa_forward_progress 0
		.amdhsa_round_robin_scheduling 0
		.amdhsa_exception_fp_ieee_invalid_op 0
		.amdhsa_exception_fp_denorm_src 0
		.amdhsa_exception_fp_ieee_div_zero 0
		.amdhsa_exception_fp_ieee_overflow 0
		.amdhsa_exception_fp_ieee_underflow 0
		.amdhsa_exception_fp_ieee_inexact 0
		.amdhsa_exception_int_div_zero 0
	.end_amdhsa_kernel
	.text
.Lfunc_end0:
	.size	fft_rtc_fwd_len612_factors_17_3_6_2_wgs_51_tpt_51_halfLds_dp_op_CI_CI_unitstride_sbrr_C2R_dirReg, .Lfunc_end0-fft_rtc_fwd_len612_factors_17_3_6_2_wgs_51_tpt_51_halfLds_dp_op_CI_CI_unitstride_sbrr_C2R_dirReg
                                        ; -- End function
	.section	.AMDGPU.csdata,"",@progbits
; Kernel info:
; codeLenInByte = 12548
; NumSgprs: 58
; NumVgprs: 255
; ScratchSize: 108
; MemoryBound: 0
; FloatMode: 240
; IeeeMode: 1
; LDSByteSize: 0 bytes/workgroup (compile time only)
; SGPRBlocks: 7
; VGPRBlocks: 31
; NumSGPRsForWavesPerEU: 58
; NumVGPRsForWavesPerEU: 255
; Occupancy: 5
; WaveLimiterHint : 1
; COMPUTE_PGM_RSRC2:SCRATCH_EN: 1
; COMPUTE_PGM_RSRC2:USER_SGPR: 2
; COMPUTE_PGM_RSRC2:TRAP_HANDLER: 0
; COMPUTE_PGM_RSRC2:TGID_X_EN: 1
; COMPUTE_PGM_RSRC2:TGID_Y_EN: 0
; COMPUTE_PGM_RSRC2:TGID_Z_EN: 0
; COMPUTE_PGM_RSRC2:TIDIG_COMP_CNT: 0
	.text
	.p2alignl 7, 3214868480
	.fill 96, 4, 3214868480
	.type	__hip_cuid_35032a6ccc7b58ea,@object ; @__hip_cuid_35032a6ccc7b58ea
	.section	.bss,"aw",@nobits
	.globl	__hip_cuid_35032a6ccc7b58ea
__hip_cuid_35032a6ccc7b58ea:
	.byte	0                               ; 0x0
	.size	__hip_cuid_35032a6ccc7b58ea, 1

	.ident	"AMD clang version 19.0.0git (https://github.com/RadeonOpenCompute/llvm-project roc-6.4.0 25133 c7fe45cf4b819c5991fe208aaa96edf142730f1d)"
	.section	".note.GNU-stack","",@progbits
	.addrsig
	.addrsig_sym __hip_cuid_35032a6ccc7b58ea
	.amdgpu_metadata
---
amdhsa.kernels:
  - .args:
      - .actual_access:  read_only
        .address_space:  global
        .offset:         0
        .size:           8
        .value_kind:     global_buffer
      - .offset:         8
        .size:           8
        .value_kind:     by_value
      - .actual_access:  read_only
        .address_space:  global
        .offset:         16
        .size:           8
        .value_kind:     global_buffer
      - .actual_access:  read_only
        .address_space:  global
        .offset:         24
        .size:           8
        .value_kind:     global_buffer
      - .actual_access:  read_only
        .address_space:  global
        .offset:         32
        .size:           8
        .value_kind:     global_buffer
      - .offset:         40
        .size:           8
        .value_kind:     by_value
      - .actual_access:  read_only
        .address_space:  global
        .offset:         48
        .size:           8
        .value_kind:     global_buffer
      - .actual_access:  read_only
        .address_space:  global
        .offset:         56
        .size:           8
        .value_kind:     global_buffer
      - .offset:         64
        .size:           4
        .value_kind:     by_value
      - .actual_access:  read_only
        .address_space:  global
        .offset:         72
        .size:           8
        .value_kind:     global_buffer
      - .actual_access:  read_only
        .address_space:  global
        .offset:         80
        .size:           8
        .value_kind:     global_buffer
      - .actual_access:  read_only
        .address_space:  global
        .offset:         88
        .size:           8
        .value_kind:     global_buffer
      - .actual_access:  write_only
        .address_space:  global
        .offset:         96
        .size:           8
        .value_kind:     global_buffer
    .group_segment_fixed_size: 0
    .kernarg_segment_align: 8
    .kernarg_segment_size: 104
    .language:       OpenCL C
    .language_version:
      - 2
      - 0
    .max_flat_workgroup_size: 51
    .name:           fft_rtc_fwd_len612_factors_17_3_6_2_wgs_51_tpt_51_halfLds_dp_op_CI_CI_unitstride_sbrr_C2R_dirReg
    .private_segment_fixed_size: 108
    .sgpr_count:     58
    .sgpr_spill_count: 0
    .symbol:         fft_rtc_fwd_len612_factors_17_3_6_2_wgs_51_tpt_51_halfLds_dp_op_CI_CI_unitstride_sbrr_C2R_dirReg.kd
    .uniform_work_group_size: 1
    .uses_dynamic_stack: false
    .vgpr_count:     255
    .vgpr_spill_count: 26
    .wavefront_size: 32
    .workgroup_processor_mode: 1
amdhsa.target:   amdgcn-amd-amdhsa--gfx1201
amdhsa.version:
  - 1
  - 2
...

	.end_amdgpu_metadata
